;; amdgpu-corpus repo=ROCm/rocFFT kind=compiled arch=gfx906 opt=O3
	.text
	.amdgcn_target "amdgcn-amd-amdhsa--gfx906"
	.amdhsa_code_object_version 6
	.protected	bluestein_single_fwd_len102_dim1_sp_op_CI_CI ; -- Begin function bluestein_single_fwd_len102_dim1_sp_op_CI_CI
	.globl	bluestein_single_fwd_len102_dim1_sp_op_CI_CI
	.p2align	8
	.type	bluestein_single_fwd_len102_dim1_sp_op_CI_CI,@function
bluestein_single_fwd_len102_dim1_sp_op_CI_CI: ; @bluestein_single_fwd_len102_dim1_sp_op_CI_CI
; %bb.0:
	v_mul_u32_u24_e32 v1, 0xf10, v0
	s_load_dwordx4 s[0:3], s[4:5], 0x28
	v_lshrrev_b32_e32 v1, 16, v1
	v_mad_u64_u32 v[52:53], s[6:7], s6, 7, v[1:2]
	v_mov_b32_e32 v53, 0
	s_waitcnt lgkmcnt(0)
	v_cmp_gt_u64_e32 vcc, s[0:1], v[52:53]
	s_and_saveexec_b64 s[0:1], vcc
	s_cbranch_execz .LBB0_15
; %bb.1:
	s_mov_b32 s0, 0x24924925
	v_mul_hi_u32 v2, v52, s0
	s_load_dwordx2 s[6:7], s[4:5], 0x0
	s_load_dwordx2 s[12:13], s[4:5], 0x38
	v_mul_lo_u16_e32 v1, 17, v1
	v_sub_u16_e32 v57, v0, v1
	v_sub_u32_e32 v3, v52, v2
	v_lshrrev_b32_e32 v3, 1, v3
	v_add_u32_e32 v2, v3, v2
	v_lshrrev_b32_e32 v2, 2, v2
	v_mul_lo_u32 v2, v2, 7
	v_cmp_gt_u16_e32 vcc, 6, v57
	v_lshlrev_b32_e32 v58, 3, v57
	v_or_b32_e32 v60, 24, v57
	v_sub_u32_e32 v0, v52, v2
	v_mul_u32_u24_e32 v62, 0x66, v0
	v_lshlrev_b32_e32 v61, 3, v62
	v_or_b32_e32 v59, 48, v57
	s_and_saveexec_b64 s[14:15], vcc
	s_cbranch_execz .LBB0_3
; %bb.2:
	s_load_dwordx2 s[0:1], s[4:5], 0x18
	v_or_b32_e32 v53, 0x48, v57
	s_waitcnt lgkmcnt(0)
	s_load_dwordx4 s[8:11], s[0:1], 0x0
	s_waitcnt lgkmcnt(0)
	v_mad_u64_u32 v[0:1], s[0:1], s10, v52, 0
	v_mad_u64_u32 v[2:3], s[0:1], s8, v57, 0
	s_mul_i32 s10, s8, 0x60
	v_mad_u64_u32 v[4:5], s[0:1], s11, v52, v[1:2]
	s_mul_hi_u32 s11, s8, 48
	v_mad_u64_u32 v[5:6], s[0:1], s9, v57, v[3:4]
	v_mov_b32_e32 v1, v4
	v_lshlrev_b64 v[0:1], 3, v[0:1]
	v_mov_b32_e32 v3, v5
	v_mov_b32_e32 v6, s3
	v_lshlrev_b64 v[2:3], 3, v[2:3]
	v_add_co_u32_e64 v51, s[0:1], s2, v0
	v_addc_co_u32_e64 v56, s[0:1], v6, v1, s[0:1]
	v_add_co_u32_e64 v0, s[0:1], v51, v2
	v_addc_co_u32_e64 v1, s[0:1], v56, v3, s[0:1]
	v_mad_u64_u32 v[10:11], s[0:1], s8, v60, 0
	s_mul_i32 s3, s9, 48
	s_mul_i32 s0, s9, 0x60
	s_mul_hi_u32 s1, s8, 0x60
	s_add_i32 s3, s11, s3
	s_add_i32 s11, s1, s0
	v_mad_u64_u32 v[11:12], s[0:1], s9, v60, v[11:12]
	s_mul_i32 s2, s8, 48
	v_mov_b32_e32 v13, s3
	v_lshlrev_b64 v[10:11], 3, v[10:11]
	v_mov_b32_e32 v15, s3
	v_add_co_u32_e64 v10, s[0:1], v51, v10
	v_addc_co_u32_e64 v11, s[0:1], v56, v11, s[0:1]
	v_add_co_u32_e64 v12, s[0:1], s2, v0
	v_addc_co_u32_e64 v13, s[0:1], v1, v13, s[0:1]
	v_add_co_u32_e64 v14, s[0:1], s2, v12
	v_addc_co_u32_e64 v15, s[0:1], v13, v15, s[0:1]
	v_mov_b32_e32 v17, s3
	v_add_co_u32_e64 v16, s[0:1], s2, v14
	v_addc_co_u32_e64 v17, s[0:1], v15, v17, s[0:1]
	global_load_dwordx2 v[2:3], v58, s[6:7]
	global_load_dwordx2 v[4:5], v58, s[6:7] offset:48
	global_load_dwordx2 v[6:7], v58, s[6:7] offset:96
	;; [unrolled: 1-line block ×3, first 2 shown]
	v_mov_b32_e32 v26, s11
	global_load_dwordx2 v[18:19], v[0:1], off
	global_load_dwordx2 v[20:21], v[12:13], off
	;; [unrolled: 1-line block ×4, first 2 shown]
	v_add_co_u32_e64 v0, s[0:1], s10, v16
	v_addc_co_u32_e64 v1, s[0:1], v17, v26, s[0:1]
	global_load_dwordx2 v[12:13], v[10:11], off
	global_load_dwordx2 v[14:15], v[0:1], off
	global_load_dwordx2 v[16:17], v58, s[6:7] offset:192
	global_load_dwordx2 v[26:27], v58, s[6:7] offset:240
	;; [unrolled: 1-line block ×4, first 2 shown]
	v_mad_u64_u32 v[10:11], s[0:1], s8, v59, 0
	v_mov_b32_e32 v32, s3
	v_add_co_u32_e64 v0, s[0:1], s2, v0
	v_addc_co_u32_e64 v1, s[0:1], v1, v32, s[0:1]
	global_load_dwordx2 v[32:33], v[0:1], off
	v_mov_b32_e32 v36, s3
	v_mov_b32_e32 v55, s3
	;; [unrolled: 1-line block ×3, first 2 shown]
	s_waitcnt vmcnt(6)
	v_mad_u64_u32 v[34:35], s[0:1], s9, v59, v[11:12]
	v_add_co_u32_e64 v0, s[0:1], s2, v0
	v_addc_co_u32_e64 v1, s[0:1], v1, v36, s[0:1]
	global_load_dwordx2 v[35:36], v[0:1], off
	v_mov_b32_e32 v11, v34
	v_lshlrev_b64 v[10:11], 3, v[10:11]
	v_mov_b32_e32 v34, s11
	v_add_co_u32_e64 v10, s[0:1], v51, v10
	v_addc_co_u32_e64 v11, s[0:1], v56, v11, s[0:1]
	v_add_co_u32_e64 v0, s[0:1], s10, v0
	v_addc_co_u32_e64 v1, s[0:1], v1, v34, s[0:1]
	global_load_dwordx2 v[37:38], v[0:1], off
	v_mov_b32_e32 v34, s3
	v_add_co_u32_e64 v0, s[0:1], s2, v0
	v_addc_co_u32_e64 v1, s[0:1], v1, v34, s[0:1]
	v_mad_u64_u32 v[41:42], s[0:1], s8, v53, 0
	global_load_dwordx2 v[39:40], v[0:1], off
	v_mov_b32_e32 v34, v42
	global_load_dwordx2 v[10:11], v[10:11], off
	s_nop 0
	global_load_dwordx2 v[43:44], v58, s[6:7] offset:384
	global_load_dwordx2 v[45:46], v58, s[6:7] offset:432
	;; [unrolled: 1-line block ×5, first 2 shown]
	s_waitcnt vmcnt(8)
	v_mad_u64_u32 v[53:54], s[0:1], s9, v53, v[34:35]
	v_add_co_u32_e64 v0, s[0:1], s2, v0
	v_mov_b32_e32 v42, v53
	v_lshlrev_b64 v[41:42], 3, v[41:42]
	v_addc_co_u32_e64 v1, s[0:1], v1, v55, s[0:1]
	v_add_co_u32_e64 v41, s[0:1], v51, v41
	v_addc_co_u32_e64 v42, s[0:1], v56, v42, s[0:1]
	global_load_dwordx2 v[54:55], v[0:1], off
	v_mov_b32_e32 v34, s11
	v_add_co_u32_e64 v0, s[0:1], s10, v0
	v_or_b32_e32 v53, 0x60, v57
	v_addc_co_u32_e64 v1, s[0:1], v1, v34, s[0:1]
	v_mad_u64_u32 v[65:66], s[0:1], s8, v53, 0
	global_load_dwordx2 v[63:64], v[0:1], off
	v_mov_b32_e32 v34, s3
	v_add_co_u32_e64 v0, s[0:1], s2, v0
	v_addc_co_u32_e64 v1, s[0:1], v1, v34, s[0:1]
	v_mov_b32_e32 v34, v66
	v_mad_u64_u32 v[71:72], s[0:1], s9, v53, v[34:35]
	global_load_dwordx2 v[72:73], v58, s[6:7] offset:624
	global_load_dwordx2 v[67:68], v[0:1], off
	v_add_co_u32_e64 v0, s[0:1], s2, v0
	v_addc_co_u32_e64 v1, s[0:1], v1, v74, s[0:1]
	v_mov_b32_e32 v66, v71
	global_load_dwordx2 v[41:42], v[41:42], off
	s_nop 0
	global_load_dwordx2 v[74:75], v[0:1], off
	global_load_dwordx2 v[76:77], v58, s[6:7] offset:672
	v_lshlrev_b64 v[0:1], 3, v[65:66]
	global_load_dwordx2 v[65:66], v58, s[6:7] offset:720
	v_add_co_u32_e64 v0, s[0:1], v51, v0
	v_addc_co_u32_e64 v1, s[0:1], v56, v1, s[0:1]
	global_load_dwordx2 v[78:79], v[0:1], off
	global_load_dwordx2 v[80:81], v58, s[6:7] offset:768
	v_mul_f32_e32 v0, v19, v3
	v_mul_f32_e32 v1, v18, v3
	v_fmac_f32_e32 v0, v18, v2
	v_fma_f32 v1, v19, v2, -v1
	v_mul_f32_e32 v2, v12, v17
	v_fma_f32 v3, v13, v16, -v2
	v_mul_f32_e32 v2, v13, v17
	v_fmac_f32_e32 v2, v12, v16
	v_mul_f32_e32 v12, v20, v5
	v_fma_f32 v13, v21, v4, -v12
	v_mul_f32_e32 v12, v21, v5
	v_fmac_f32_e32 v12, v20, v4
	v_lshl_add_u32 v16, v57, 3, v61
	v_mul_f32_e32 v4, v22, v7
	v_fma_f32 v5, v23, v6, -v4
	v_mul_f32_e32 v4, v23, v7
	ds_write_b64 v16, v[0:1]
	v_mul_f32_e32 v0, v25, v9
	v_mul_f32_e32 v1, v24, v9
	v_fmac_f32_e32 v4, v22, v6
	v_add_u32_e32 v6, v61, v58
	v_fmac_f32_e32 v0, v24, v8
	v_fma_f32 v1, v25, v8, -v1
	ds_write2_b64 v6, v[0:1], v[2:3] offset0:18 offset1:24
	v_mul_f32_e32 v0, v32, v29
	ds_write2_b64 v6, v[12:13], v[4:5] offset0:6 offset1:12
	v_mul_f32_e32 v4, v15, v27
	v_mul_f32_e32 v5, v14, v27
	v_fma_f32 v1, v33, v28, -v0
	v_mul_f32_e32 v0, v33, v29
	v_fmac_f32_e32 v4, v14, v26
	v_fma_f32 v5, v15, v26, -v5
	v_fmac_f32_e32 v0, v32, v28
	ds_write2_b64 v6, v[4:5], v[0:1] offset0:30 offset1:36
	v_mul_f32_e32 v0, v36, v31
	v_mul_f32_e32 v1, v35, v31
	s_waitcnt vmcnt(14)
	v_mul_f32_e32 v2, v11, v44
	v_mul_f32_e32 v3, v10, v44
	v_fmac_f32_e32 v0, v35, v30
	v_fma_f32 v1, v36, v30, -v1
	v_fmac_f32_e32 v2, v10, v43
	v_fma_f32 v3, v11, v43, -v3
	ds_write2_b64 v6, v[0:1], v[2:3] offset0:42 offset1:48
	s_waitcnt vmcnt(13)
	v_mul_f32_e32 v0, v38, v46
	v_mul_f32_e32 v1, v37, v46
	s_waitcnt vmcnt(12)
	v_mul_f32_e32 v2, v40, v48
	v_mul_f32_e32 v3, v39, v48
	v_fmac_f32_e32 v0, v37, v45
	v_fma_f32 v1, v38, v45, -v1
	v_fmac_f32_e32 v2, v39, v47
	v_fma_f32 v3, v40, v47, -v3
	ds_write2_b64 v6, v[0:1], v[2:3] offset0:54 offset1:60
	s_waitcnt vmcnt(9)
	v_mul_f32_e32 v0, v55, v50
	v_mul_f32_e32 v1, v54, v50
	v_fmac_f32_e32 v0, v54, v49
	v_fma_f32 v1, v55, v49, -v1
	s_waitcnt vmcnt(5)
	v_mul_f32_e32 v2, v42, v70
	v_mul_f32_e32 v3, v41, v70
	v_fmac_f32_e32 v2, v41, v69
	v_fma_f32 v3, v42, v69, -v3
	ds_write2_b64 v6, v[0:1], v[2:3] offset0:66 offset1:72
	v_mul_f32_e32 v0, v64, v73
	v_mul_f32_e32 v1, v63, v73
	s_waitcnt vmcnt(3)
	v_mul_f32_e32 v2, v68, v77
	v_mul_f32_e32 v3, v67, v77
	v_fmac_f32_e32 v0, v63, v72
	v_fma_f32 v1, v64, v72, -v1
	v_fmac_f32_e32 v2, v67, v76
	v_fma_f32 v3, v68, v76, -v3
	ds_write2_b64 v6, v[0:1], v[2:3] offset0:78 offset1:84
	s_waitcnt vmcnt(2)
	v_mul_f32_e32 v0, v75, v66
	v_mul_f32_e32 v1, v74, v66
	s_waitcnt vmcnt(0)
	v_mul_f32_e32 v2, v79, v81
	v_mul_f32_e32 v3, v78, v81
	v_fmac_f32_e32 v0, v74, v65
	v_fma_f32 v1, v75, v65, -v1
	v_fmac_f32_e32 v2, v78, v80
	v_fma_f32 v3, v79, v80, -v3
	ds_write2_b64 v6, v[0:1], v[2:3] offset0:90 offset1:96
.LBB0_3:
	s_or_b64 exec, exec, s[14:15]
	s_load_dwordx2 s[0:1], s[4:5], 0x20
	s_load_dwordx2 s[8:9], s[4:5], 0x8
	v_mov_b32_e32 v16, 0
	v_mov_b32_e32 v17, 0
	s_waitcnt lgkmcnt(0)
	s_barrier
	s_waitcnt lgkmcnt(0)
                                        ; implicit-def: $vgpr51
                                        ; implicit-def: $vgpr47
                                        ; implicit-def: $vgpr43
                                        ; implicit-def: $vgpr35
                                        ; implicit-def: $vgpr55
                                        ; implicit-def: $vgpr38
                                        ; implicit-def: $vgpr30
                                        ; implicit-def: $vgpr22
	s_and_saveexec_b64 s[2:3], vcc
	s_cbranch_execz .LBB0_5
; %bb.4:
	v_lshl_add_u32 v0, v62, 3, v58
	ds_read2_b64 v[16:19], v0 offset1:6
	ds_read2_b64 v[20:23], v0 offset0:12 offset1:18
	ds_read2_b64 v[28:31], v0 offset0:24 offset1:30
	;; [unrolled: 1-line block ×7, first 2 shown]
	ds_read_b64 v[55:56], v0 offset:768
.LBB0_5:
	s_or_b64 exec, exec, s[2:3]
	s_waitcnt lgkmcnt(0)
	v_sub_f32_e32 v24, v19, v56
	v_mul_f32_e32 v64, 0xbeb8f4ab, v24
	v_sub_f32_e32 v25, v21, v51
	v_add_f32_e32 v70, v55, v18
	v_mov_b32_e32 v0, v64
	v_mul_f32_e32 v65, 0xbf2c7751, v25
	v_fmac_f32_e32 v0, 0x3f6eb680, v70
	v_add_f32_e32 v74, v50, v20
	v_mov_b32_e32 v1, v65
	v_sub_f32_e32 v26, v18, v55
	v_add_f32_e32 v71, v56, v19
	v_add_f32_e32 v0, v0, v16
	v_fmac_f32_e32 v1, 0x3f3d2fb0, v74
	s_mov_b32 s2, 0x3f6eb680
	v_mul_f32_e32 v66, 0xbeb8f4ab, v26
	v_sub_f32_e32 v27, v20, v50
	v_add_f32_e32 v0, v1, v0
	v_fma_f32 v1, v71, s2, -v66
	s_mov_b32 s3, 0x3f3d2fb0
	v_add_f32_e32 v75, v51, v21
	v_mul_f32_e32 v67, 0xbf2c7751, v27
	v_sub_f32_e32 v63, v23, v49
	v_add_f32_e32 v1, v1, v17
	v_fma_f32 v2, v75, s3, -v67
	v_mul_f32_e32 v68, 0xbf65296c, v63
	v_add_f32_e32 v1, v2, v1
	v_add_f32_e32 v78, v48, v22
	v_mov_b32_e32 v2, v68
	v_sub_f32_e32 v85, v22, v48
	v_fmac_f32_e32 v2, 0x3ee437d1, v78
	s_mov_b32 s4, 0x3ee437d1
	v_add_f32_e32 v79, v49, v23
	v_mul_f32_e32 v69, 0xbf65296c, v85
	v_sub_f32_e32 v90, v29, v47
	v_add_f32_e32 v0, v2, v0
	v_fma_f32 v2, v79, s4, -v69
	v_mul_f32_e32 v72, 0xbf7ee86f, v90
	v_add_f32_e32 v1, v2, v1
	v_add_f32_e32 v82, v46, v28
	v_mov_b32_e32 v2, v72
	v_sub_f32_e32 v91, v28, v46
	v_fmac_f32_e32 v2, 0x3dbcf732, v82
	;; [unrolled: 12-line block ×5, first 2 shown]
	s_mov_b32 s14, 0xbf59a7d5
	v_add_f32_e32 v110, v41, v39
	v_mul_f32_e32 v86, 0xbf06c442, v136
	v_sub_f32_e32 v169, v33, v35
	v_add_f32_e32 v0, v2, v0
	v_fma_f32 v2, v110, s14, -v86
	v_mul_f32_e32 v89, 0xbe3c28d5, v169
	v_add_f32_e32 v1, v2, v1
	v_add_f32_e32 v123, v34, v32
	v_mov_b32_e32 v2, v89
	v_sub_f32_e32 v170, v32, v34
	s_mov_b32 s15, 0xbf7ba420
	v_fmac_f32_e32 v2, 0xbf7ba420, v123
	v_add_f32_e32 v126, v35, v33
	v_mul_f32_e32 v93, 0xbe3c28d5, v170
	v_add_f32_e32 v53, v2, v0
	v_fma_f32 v0, v126, s15, -v93
	v_mul_f32_e32 v95, 0xbf2c7751, v24
	v_add_f32_e32 v54, v0, v1
	v_mov_b32_e32 v0, v95
	v_mul_f32_e32 v96, 0xbf7ee86f, v25
	v_fmac_f32_e32 v0, 0x3f3d2fb0, v70
	v_mov_b32_e32 v1, v96
	v_add_f32_e32 v0, v0, v16
	v_fmac_f32_e32 v1, 0x3dbcf732, v74
	v_mul_f32_e32 v102, 0xbf2c7751, v26
	v_add_f32_e32 v0, v1, v0
	v_fma_f32 v1, v71, s3, -v102
	v_mul_f32_e32 v103, 0xbf7ee86f, v27
	v_add_f32_e32 v1, v1, v17
	v_fma_f32 v2, v75, s5, -v103
	v_mul_f32_e32 v97, 0xbf4c4adb, v63
	v_add_f32_e32 v1, v2, v1
	v_mov_b32_e32 v2, v97
	v_fmac_f32_e32 v2, 0xbf1a4643, v78
	v_mul_f32_e32 v105, 0xbf4c4adb, v85
	v_add_f32_e32 v0, v2, v0
	v_fma_f32 v2, v79, s11, -v105
	v_mul_f32_e32 v98, 0xbe3c28d5, v90
	v_add_f32_e32 v1, v2, v1
	v_mov_b32_e32 v2, v98
	v_fmac_f32_e32 v2, 0xbf7ba420, v82
	;; [unrolled: 7-line block ×6, first 2 shown]
	v_mul_f32_e32 v114, 0x3eb8f4ab, v170
	v_mul_f32_e32 v116, 0xbf65296c, v24
	v_fma_f32 v3, v126, s2, -v114
	v_add_f32_e32 v2, v2, v0
	v_mov_b32_e32 v0, v116
	v_mul_f32_e32 v117, 0xbf4c4adb, v25
	v_add_f32_e32 v3, v3, v1
	v_fmac_f32_e32 v0, 0x3ee437d1, v70
	v_mov_b32_e32 v1, v117
	v_add_f32_e32 v0, v0, v16
	v_fmac_f32_e32 v1, 0xbf1a4643, v74
	v_mul_f32_e32 v119, 0x3e3c28d5, v63
	v_add_f32_e32 v0, v1, v0
	v_mov_b32_e32 v1, v119
	v_fmac_f32_e32 v1, 0xbf7ba420, v78
	v_mul_f32_e32 v120, 0x3f763a35, v90
	v_add_f32_e32 v0, v1, v0
	v_mov_b32_e32 v1, v120
	;; [unrolled: 4-line block ×6, first 2 shown]
	v_fmac_f32_e32 v1, 0xbf59a7d5, v123
	v_mul_f32_e32 v127, 0xbf65296c, v26
	v_add_f32_e32 v0, v1, v0
	v_fma_f32 v1, v71, s4, -v127
	v_mul_f32_e32 v128, 0xbf4c4adb, v27
	v_add_f32_e32 v1, v1, v17
	v_fma_f32 v4, v75, s11, -v128
	;; [unrolled: 3-line block ×8, first 2 shown]
	v_mul_f32_e32 v137, 0xbf7ee86f, v24
	v_add_f32_e32 v1, v4, v1
	v_mov_b32_e32 v4, v137
	v_mul_f32_e32 v138, 0xbe3c28d5, v25
	v_fmac_f32_e32 v4, 0x3dbcf732, v70
	v_mov_b32_e32 v5, v138
	v_add_f32_e32 v4, v4, v16
	v_fmac_f32_e32 v5, 0xbf7ba420, v74
	v_mul_f32_e32 v142, 0xbf7ee86f, v26
	v_add_f32_e32 v4, v5, v4
	v_fma_f32 v5, v71, s5, -v142
	v_mul_f32_e32 v143, 0xbe3c28d5, v27
	v_add_f32_e32 v5, v5, v17
	v_fma_f32 v6, v75, s15, -v143
	v_mul_f32_e32 v139, 0x3f763a35, v63
	v_add_f32_e32 v5, v6, v5
	v_mov_b32_e32 v6, v139
	v_fmac_f32_e32 v6, 0xbe8c1d8e, v78
	v_mul_f32_e32 v145, 0x3f763a35, v85
	v_add_f32_e32 v4, v6, v4
	v_fma_f32 v6, v79, s10, -v145
	v_mul_f32_e32 v140, 0x3eb8f4ab, v90
	v_add_f32_e32 v5, v6, v5
	v_mov_b32_e32 v6, v140
	v_fmac_f32_e32 v6, 0x3f6eb680, v82
	;; [unrolled: 7-line block ×6, first 2 shown]
	v_mul_f32_e32 v152, 0x3f2c7751, v170
	v_mul_f32_e32 v153, 0xbf763a35, v24
	v_fma_f32 v7, v126, s3, -v152
	v_add_f32_e32 v6, v6, v4
	v_mov_b32_e32 v4, v153
	v_mul_f32_e32 v154, 0x3f06c442, v25
	v_add_f32_e32 v7, v7, v5
	v_fmac_f32_e32 v4, 0xbe8c1d8e, v70
	v_mov_b32_e32 v5, v154
	v_add_f32_e32 v4, v4, v16
	v_fmac_f32_e32 v5, 0xbf59a7d5, v74
	v_mul_f32_e32 v155, 0x3f2c7751, v63
	v_add_f32_e32 v4, v5, v4
	v_mov_b32_e32 v5, v155
	v_fmac_f32_e32 v5, 0x3f3d2fb0, v78
	v_mul_f32_e32 v156, 0xbf65296c, v90
	v_add_f32_e32 v4, v5, v4
	v_mov_b32_e32 v5, v156
	;; [unrolled: 4-line block ×6, first 2 shown]
	v_fmac_f32_e32 v5, 0xbf1a4643, v123
	v_mul_f32_e32 v161, 0xbf763a35, v26
	v_add_f32_e32 v4, v5, v4
	v_fma_f32 v5, v71, s10, -v161
	v_mul_f32_e32 v162, 0x3f06c442, v27
	v_add_f32_e32 v5, v5, v17
	v_fma_f32 v8, v75, s14, -v162
	;; [unrolled: 3-line block ×10, first 2 shown]
	v_mul_f32_e32 v12, 0xbf4c4adb, v26
	v_add_f32_e32 v8, v9, v8
	v_mov_b32_e32 v9, v12
	v_mul_f32_e32 v13, 0x3f763a35, v27
	v_fmac_f32_e32 v9, 0xbf1a4643, v71
	v_mov_b32_e32 v14, v13
	v_add_f32_e32 v9, v9, v17
	v_fmac_f32_e32 v14, 0xbe8c1d8e, v75
	v_add_f32_e32 v9, v14, v9
	v_mul_f32_e32 v14, 0xbeb8f4ab, v63
	v_fma_f32 v15, v78, s2, -v14
	v_add_f32_e32 v8, v15, v8
	v_mul_f32_e32 v15, 0xbeb8f4ab, v85
	v_mov_b32_e32 v171, v15
	v_fmac_f32_e32 v171, 0x3f6eb680, v79
	v_add_f32_e32 v9, v171, v9
	v_mul_f32_e32 v171, 0xbf06c442, v90
	v_fma_f32 v172, v82, s14, -v171
	v_add_f32_e32 v8, v172, v8
	v_mul_f32_e32 v172, 0xbf06c442, v91
	v_mov_b32_e32 v173, v172
	;; [unrolled: 7-line block ×3, first 2 shown]
	v_fmac_f32_e32 v175, 0x3dbcf732, v88
	v_add_f32_e32 v9, v175, v9
	v_mul_f32_e32 v175, 0xbf2c7751, v115
	v_fma_f32 v176, v92, s3, -v175
	v_add_f32_e32 v8, v176, v8
	v_mul_f32_e32 v176, 0xbf2c7751, v118
	v_fmac_f32_e32 v10, 0xbf1a4643, v70
	v_mov_b32_e32 v177, v176
	v_add_f32_e32 v10, v10, v16
	v_fmac_f32_e32 v11, 0xbe8c1d8e, v74
	v_fmac_f32_e32 v177, 0x3f3d2fb0, v94
	v_add_f32_e32 v10, v11, v10
	v_fma_f32 v11, v71, s11, -v12
	v_add_f32_e32 v9, v177, v9
	v_mul_f32_e32 v177, 0xbe3c28d5, v135
	v_add_f32_e32 v11, v11, v17
	v_fma_f32 v12, v75, s10, -v13
	v_fma_f32 v178, v107, s15, -v177
	v_add_f32_e32 v11, v12, v11
	v_fma_f32 v12, v79, s2, -v15
	v_add_f32_e32 v8, v178, v8
	v_mul_f32_e32 v178, 0xbe3c28d5, v136
	v_fmac_f32_e32 v14, 0x3f6eb680, v78
	v_add_f32_e32 v11, v12, v11
	v_fma_f32 v12, v83, s14, -v172
	v_mov_b32_e32 v179, v178
	v_add_f32_e32 v10, v14, v10
	v_fmac_f32_e32 v171, 0xbf59a7d5, v82
	v_add_f32_e32 v11, v12, v11
	v_fma_f32 v12, v88, s5, -v174
	v_fmac_f32_e32 v179, 0xbf7ba420, v110
	v_add_f32_e32 v10, v171, v10
	v_fmac_f32_e32 v173, 0x3dbcf732, v87
	v_add_f32_e32 v11, v12, v11
	v_fma_f32 v12, v94, s3, -v176
	v_add_f32_e32 v9, v179, v9
	v_mul_f32_e32 v179, 0x3f65296c, v170
	v_add_f32_e32 v10, v173, v10
	v_fmac_f32_e32 v175, 0x3f3d2fb0, v92
	v_add_f32_e32 v11, v12, v11
	v_fma_f32 v12, v110, s15, -v178
	v_mul_f32_e32 v181, 0x3f65296c, v169
	v_add_f32_e32 v10, v175, v10
	v_fmac_f32_e32 v177, 0xbf7ba420, v107
	v_add_f32_e32 v11, v12, v11
	v_fma_f32 v12, v126, s4, -v179
	v_fma_f32 v182, v123, s4, -v181
	v_add_f32_e32 v10, v177, v10
	v_fmac_f32_e32 v181, 0x3ee437d1, v123
	v_add_f32_e32 v15, v12, v11
	v_mul_f32_e32 v12, 0xbf06c442, v24
	v_add_f32_e32 v14, v181, v10
	v_fma_f32 v10, v70, s14, -v12
	v_mul_f32_e32 v13, 0x3f65296c, v25
	v_add_f32_e32 v10, v10, v16
	v_fma_f32 v11, v74, s4, -v13
	;; [unrolled: 3-line block ×8, first 2 shown]
	v_mul_f32_e32 v177, 0xbf06c442, v26
	v_add_f32_e32 v10, v11, v10
	v_mov_b32_e32 v11, v177
	v_mul_f32_e32 v178, 0x3f65296c, v27
	v_mov_b32_e32 v180, v179
	v_fmac_f32_e32 v11, 0xbf59a7d5, v71
	v_mov_b32_e32 v179, v178
	v_add_f32_e32 v11, v11, v17
	v_fmac_f32_e32 v179, 0x3ee437d1, v75
	v_fmac_f32_e32 v180, 0x3ee437d1, v126
	v_add_f32_e32 v11, v179, v11
	v_mul_f32_e32 v179, 0xbf7ee86f, v85
	v_add_f32_e32 v9, v180, v9
	v_mov_b32_e32 v180, v179
	v_fmac_f32_e32 v180, 0x3dbcf732, v79
	v_add_f32_e32 v11, v180, v11
	v_mul_f32_e32 v180, 0x3f4c4adb, v91
	v_mov_b32_e32 v181, v180
	v_fmac_f32_e32 v181, 0xbf1a4643, v83
	v_add_f32_e32 v11, v181, v11
	v_mul_f32_e32 v181, 0xbeb8f4ab, v101
	v_add_f32_e32 v8, v182, v8
	v_mov_b32_e32 v182, v181
	v_fmac_f32_e32 v12, 0xbf59a7d5, v70
	v_fmac_f32_e32 v182, 0x3f6eb680, v88
	v_add_f32_e32 v12, v12, v16
	v_fmac_f32_e32 v13, 0x3ee437d1, v74
	v_add_f32_e32 v11, v182, v11
	v_mul_f32_e32 v182, 0xbe3c28d5, v118
	v_add_f32_e32 v12, v13, v12
	v_fmac_f32_e32 v171, 0x3dbcf732, v78
	v_fma_f32 v13, v71, s14, -v177
	v_mov_b32_e32 v183, v182
	v_add_f32_e32 v12, v171, v12
	v_add_f32_e32 v13, v13, v17
	v_fma_f32 v171, v75, s4, -v178
	v_fmac_f32_e32 v183, 0xbf7ba420, v94
	v_add_f32_e32 v13, v171, v13
	v_fma_f32 v171, v79, s5, -v179
	v_add_f32_e32 v11, v183, v11
	v_mul_f32_e32 v183, 0x3f2c7751, v136
	v_add_f32_e32 v13, v171, v13
	v_fma_f32 v171, v83, s11, -v180
	v_mov_b32_e32 v184, v183
	v_add_f32_e32 v13, v171, v13
	v_fma_f32 v171, v88, s2, -v181
	v_fmac_f32_e32 v184, 0x3f3d2fb0, v110
	v_add_f32_e32 v13, v171, v13
	v_fma_f32 v171, v94, s15, -v182
	v_add_f32_e32 v11, v184, v11
	v_mul_f32_e32 v184, 0xbf763a35, v170
	v_add_f32_e32 v13, v171, v13
	v_fma_f32 v171, v110, s3, -v183
	v_add_f32_e32 v13, v171, v13
	v_fma_f32 v171, v126, s10, -v184
	v_fmac_f32_e32 v172, 0xbf1a4643, v82
	v_add_f32_e32 v13, v171, v13
	v_mul_f32_e32 v171, 0xbe3c28d5, v24
	v_add_f32_e32 v12, v172, v12
	v_fmac_f32_e32 v173, 0x3f6eb680, v87
	v_fma_f32 v24, v70, s15, -v171
	v_mul_f32_e32 v172, 0x3eb8f4ab, v25
	v_add_f32_e32 v12, v173, v12
	v_add_f32_e32 v24, v24, v16
	v_fma_f32 v25, v74, s2, -v172
	v_mul_f32_e32 v173, 0xbe3c28d5, v26
	v_add_f32_e32 v24, v25, v24
	v_mov_b32_e32 v25, v173
	v_mul_f32_e32 v27, 0x3eb8f4ab, v27
	v_fmac_f32_e32 v25, 0xbf7ba420, v71
	v_mov_b32_e32 v26, v27
	v_add_f32_e32 v25, v25, v17
	v_fmac_f32_e32 v26, 0x3f6eb680, v75
	v_add_f32_e32 v25, v26, v25
	v_mul_f32_e32 v26, 0xbf06c442, v63
	v_fma_f32 v63, v78, s14, -v26
	v_add_f32_e32 v24, v63, v24
	v_mul_f32_e32 v63, 0xbf06c442, v85
	v_mov_b32_e32 v85, v63
	v_fmac_f32_e32 v85, 0xbf59a7d5, v79
	v_add_f32_e32 v25, v85, v25
	v_mul_f32_e32 v85, 0x3f2c7751, v90
	v_fma_f32 v90, v82, s3, -v85
	v_add_f32_e32 v24, v90, v24
	v_mul_f32_e32 v90, 0x3f2c7751, v91
	v_mov_b32_e32 v91, v90
	;; [unrolled: 7-line block ×5, first 2 shown]
	v_fmac_f32_e32 v136, 0xbe8c1d8e, v110
	v_add_f32_e32 v25, v136, v25
	v_mul_f32_e32 v136, 0x3f7ee86f, v169
	v_mul_f32_e32 v169, 0x3f7ee86f, v170
	v_mov_b32_e32 v170, v169
	v_fmac_f32_e32 v170, 0x3dbcf732, v126
	v_fmac_f32_e32 v171, 0xbf7ba420, v70
	v_add_f32_e32 v25, v170, v25
	v_add_f32_e32 v170, v171, v16
	v_fmac_f32_e32 v172, 0x3f6eb680, v74
	v_add_f32_e32 v170, v172, v170
	v_fmac_f32_e32 v26, 0xbf59a7d5, v78
	;; [unrolled: 2-line block ×3, first 2 shown]
	v_add_f32_e32 v26, v85, v26
	v_fma_f32 v85, v71, s15, -v173
	v_add_f32_e32 v85, v85, v17
	v_fma_f32 v27, v75, s2, -v27
	;; [unrolled: 2-line block ×4, first 2 shown]
	v_fmac_f32_e32 v91, 0xbf1a4643, v87
	v_add_f32_e32 v27, v63, v27
	v_fma_f32 v63, v88, s11, -v99
	v_fmac_f32_e32 v174, 0xbf7ba420, v92
	v_add_f32_e32 v26, v91, v26
	v_fmac_f32_e32 v101, 0x3ee437d1, v92
	v_add_f32_e32 v27, v63, v27
	v_fma_f32 v63, v94, s4, -v115
	v_mov_b32_e32 v185, v184
	v_add_f32_e32 v12, v174, v12
	v_fmac_f32_e32 v175, 0x3f3d2fb0, v107
	v_add_f32_e32 v26, v101, v26
	v_fmac_f32_e32 v118, 0xbe8c1d8e, v107
	v_add_f32_e32 v27, v63, v27
	v_fma_f32 v63, v110, s10, -v135
	v_fmac_f32_e32 v185, 0xbe8c1d8e, v126
	v_add_f32_e32 v12, v175, v12
	v_fmac_f32_e32 v176, 0xbe8c1d8e, v123
	v_fma_f32 v174, v123, s5, -v136
	v_add_f32_e32 v26, v118, v26
	v_fmac_f32_e32 v136, 0x3dbcf732, v123
	v_add_f32_e32 v27, v63, v27
	v_fma_f32 v63, v126, s5, -v169
	v_add_f32_e32 v11, v185, v11
	v_add_f32_e32 v12, v176, v12
	;; [unrolled: 1-line block ×5, first 2 shown]
	v_mul_lo_u16_e32 v63, 17, v57
	s_barrier
	s_and_saveexec_b64 s[2:3], vcc
	s_cbranch_execz .LBB0_7
; %bb.6:
	v_mul_f32_e32 v85, 0x3f6eb680, v70
	v_mul_f32_e32 v91, 0x3f3d2fb0, v70
	;; [unrolled: 1-line block ×15, first 2 shown]
	v_sub_f32_e32 v70, v70, v153
	v_mul_f32_e32 v169, 0x3f3d2fb0, v75
	v_mul_f32_e32 v171, 0x3dbcf732, v75
	;; [unrolled: 1-line block ×10, first 2 shown]
	v_add_f32_e32 v71, v161, v71
	v_add_f32_e32 v70, v70, v16
	v_sub_f32_e32 v74, v74, v154
	v_mul_f32_e32 v177, 0x3ee437d1, v79
	v_mul_f32_e32 v179, 0xbf1a4643, v79
	v_mul_f32_e32 v181, 0xbf7ba420, v79
	v_mul_f32_e32 v183, 0xbe8c1d8e, v79
	v_mul_f32_e32 v79, 0x3f3d2fb0, v79
	v_mul_f32_e32 v184, 0x3dbcf732, v82
	v_mul_f32_e32 v186, 0xbf7ba420, v82
	v_mul_f32_e32 v188, 0xbe8c1d8e, v82
	v_mul_f32_e32 v190, 0x3f6eb680, v82
	v_mul_f32_e32 v82, 0x3ee437d1, v82
	v_add_f32_e32 v71, v71, v17
	v_add_f32_e32 v75, v162, v75
	v_add_f32_e32 v70, v74, v70
	v_sub_f32_e32 v74, v78, v155
	v_mul_f32_e32 v185, 0x3dbcf732, v83
	v_mul_f32_e32 v187, 0xbf7ba420, v83
	v_mul_f32_e32 v189, 0xbe8c1d8e, v83
	v_mul_f32_e32 v191, 0x3f6eb680, v83
	v_mul_f32_e32 v83, 0x3ee437d1, v83
	v_mul_f32_e32 v192, 0xbe8c1d8e, v87
	v_mul_f32_e32 v194, 0xbf59a7d5, v87
	v_mul_f32_e32 v196, 0x3f3d2fb0, v87
	v_mul_f32_e32 v198, 0x3ee437d1, v87
	v_mul_f32_e32 v87, 0xbf7ba420, v87
	v_add_f32_e32 v71, v75, v71
	;; [unrolled: 14-line block ×5, first 2 shown]
	v_add_f32_e32 v75, v166, v94
	v_add_f32_e32 v70, v74, v70
	v_sub_f32_e32 v74, v107, v159
	v_mul_f32_e32 v217, 0xbf7ba420, v126
	v_mul_f32_e32 v219, 0x3f6eb680, v126
	;; [unrolled: 1-line block ×5, first 2 shown]
	v_add_f32_e32 v71, v75, v71
	v_add_f32_e32 v75, v167, v110
	;; [unrolled: 1-line block ×3, first 2 shown]
	v_sub_f32_e32 v74, v123, v160
	v_add_f32_e32 v71, v75, v71
	v_add_f32_e32 v75, v168, v126
	;; [unrolled: 1-line block ×20, first 2 shown]
	v_sub_f32_e32 v74, v118, v137
	v_add_f32_e32 v74, v74, v16
	v_sub_f32_e32 v78, v174, v138
	v_add_f32_e32 v74, v78, v74
	;; [unrolled: 2-line block ×8, first 2 shown]
	v_add_f32_e32 v78, v127, v115
	v_add_f32_e32 v78, v78, v17
	;; [unrolled: 1-line block ×16, first 2 shown]
	v_sub_f32_e32 v78, v101, v116
	v_add_f32_e32 v78, v78, v16
	v_sub_f32_e32 v82, v172, v117
	v_add_f32_e32 v78, v82, v78
	;; [unrolled: 2-line block ×8, first 2 shown]
	v_add_f32_e32 v82, v102, v99
	v_add_f32_e32 v82, v82, v17
	;; [unrolled: 1-line block ×16, first 2 shown]
	v_sub_f32_e32 v82, v91, v95
	v_add_f32_e32 v66, v66, v90
	v_sub_f32_e32 v64, v85, v64
	v_add_f32_e32 v82, v82, v16
	v_add_f32_e32 v66, v66, v17
	;; [unrolled: 1-line block ×20, first 2 shown]
	v_sub_f32_e32 v65, v136, v65
	v_add_f32_e32 v17, v35, v17
	v_add_f32_e32 v16, v34, v16
	v_sub_f32_e32 v87, v170, v96
	v_add_f32_e32 v66, v67, v66
	v_add_f32_e32 v67, v69, v177
	v_add_f32_e32 v64, v65, v64
	v_sub_f32_e32 v65, v176, v68
	v_add_f32_e32 v17, v41, v17
	;; [unrolled: 4-line block ×13, first 2 shown]
	v_add_f32_e32 v65, v65, v64
	v_add_f32_e32 v17, v56, v17
	;; [unrolled: 1-line block ×3, first 2 shown]
	v_add_lshl_u32 v18, v62, v63, 3
	v_add_f32_e32 v82, v87, v82
	ds_write2_b64 v18, v[16:17], v[65:66] offset1:1
	ds_write2_b64 v18, v[82:83], v[78:79] offset0:2 offset1:3
	ds_write2_b64 v18, v[74:75], v[70:71] offset0:4 offset1:5
	;; [unrolled: 1-line block ×7, first 2 shown]
	ds_write_b64 v18, v[53:54] offset:128
.LBB0_7:
	s_or_b64 exec, exec, s[2:3]
	v_mad_u64_u32 v[28:29], s[4:5], v57, 40, s[8:9]
	s_load_dwordx4 s[0:3], s[0:1], 0x0
	s_waitcnt lgkmcnt(0)
	s_barrier
	global_load_dwordx4 v[20:23], v[28:29], off
	global_load_dwordx4 v[16:19], v[28:29], off offset:16
	global_load_dwordx2 v[40:41], v[28:29], off offset:32
	v_add_lshl_u32 v64, v62, v57, 3
	ds_read2_b64 v[28:31], v64 offset1:17
	ds_read2_b64 v[32:35], v64 offset0:34 offset1:51
	ds_read2_b64 v[36:39], v64 offset0:68 offset1:85
	v_lshl_add_u32 v62, v57, 3, v61
	s_waitcnt vmcnt(2) lgkmcnt(2)
	v_mul_f32_e32 v43, v30, v21
	s_waitcnt lgkmcnt(1)
	v_mul_f32_e32 v44, v33, v23
	v_mul_f32_e32 v45, v32, v23
	s_waitcnt vmcnt(1)
	v_mul_f32_e32 v46, v35, v17
	v_mul_f32_e32 v47, v34, v17
	s_waitcnt lgkmcnt(0)
	v_mul_f32_e32 v49, v36, v19
	s_waitcnt vmcnt(0)
	v_mul_f32_e32 v50, v39, v41
	v_mul_f32_e32 v51, v38, v41
	;; [unrolled: 1-line block ×4, first 2 shown]
	v_fmac_f32_e32 v43, v31, v20
	v_fma_f32 v31, v32, v22, -v44
	v_fmac_f32_e32 v45, v33, v22
	v_fma_f32 v32, v34, v16, -v46
	v_fmac_f32_e32 v47, v35, v16
	v_fmac_f32_e32 v49, v37, v18
	v_fma_f32 v34, v38, v40, -v50
	v_fmac_f32_e32 v51, v39, v40
	v_fma_f32 v30, v30, v20, -v42
	v_fma_f32 v33, v36, v18, -v48
	v_sub_f32_e32 v37, v45, v49
	v_add_f32_e32 v38, v29, v45
	v_add_f32_e32 v39, v45, v49
	;; [unrolled: 1-line block ×3, first 2 shown]
	v_sub_f32_e32 v45, v47, v51
	v_add_f32_e32 v46, v43, v47
	v_add_f32_e32 v47, v47, v51
	;; [unrolled: 1-line block ×5, first 2 shown]
	v_fma_f32 v39, -0.5, v39, v29
	v_fmac_f32_e32 v30, -0.5, v44
	v_fmac_f32_e32 v43, -0.5, v47
	v_sub_f32_e32 v31, v31, v33
	v_sub_f32_e32 v32, v32, v34
	v_add_f32_e32 v33, v35, v33
	v_fma_f32 v36, -0.5, v36, v28
	v_add_f32_e32 v35, v38, v49
	v_add_f32_e32 v38, v46, v51
	v_mov_b32_e32 v44, v39
	v_mov_b32_e32 v46, v30
	v_fmac_f32_e32 v30, 0xbf5db3d7, v45
	v_mov_b32_e32 v47, v43
	v_add_f32_e32 v34, v42, v34
	v_mov_b32_e32 v42, v36
	v_fmac_f32_e32 v39, 0x3f5db3d7, v31
	v_fmac_f32_e32 v43, 0x3f5db3d7, v32
	;; [unrolled: 1-line block ×5, first 2 shown]
	v_mul_f32_e32 v31, -0.5, v30
	v_fmac_f32_e32 v36, 0xbf5db3d7, v37
	v_fmac_f32_e32 v42, 0x3f5db3d7, v37
	v_mul_f32_e32 v37, -0.5, v43
	v_mul_f32_e32 v45, 0x3f5db3d7, v47
	v_fmac_f32_e32 v31, 0x3f5db3d7, v43
	v_mul_f32_e32 v43, 0xbf5db3d7, v46
	v_fmac_f32_e32 v37, 0xbf5db3d7, v30
	v_fmac_f32_e32 v45, 0.5, v46
	v_fmac_f32_e32 v43, 0.5, v47
	v_add_f32_e32 v28, v33, v34
	v_add_f32_e32 v29, v35, v38
	v_sub_f32_e32 v34, v33, v34
	v_sub_f32_e32 v35, v35, v38
	v_add_f32_e32 v32, v36, v31
	v_add_f32_e32 v33, v39, v37
	v_sub_f32_e32 v38, v36, v31
	v_sub_f32_e32 v39, v39, v37
	;; [unrolled: 4-line block ×3, first 2 shown]
	ds_write2_b64 v62, v[32:33], v[34:35] offset0:34 offset1:51
	ds_write2_b64 v62, v[28:29], v[30:31] offset1:17
	ds_write2_b64 v62, v[36:37], v[38:39] offset0:68 offset1:85
	s_waitcnt lgkmcnt(0)
	s_barrier
	s_and_saveexec_b64 s[4:5], vcc
	s_cbranch_execz .LBB0_9
; %bb.8:
	global_load_dwordx2 v[50:51], v58, s[6:7] offset:816
	s_add_u32 s8, s6, 0x330
	s_addc_u32 s9, s7, 0
	global_load_dwordx2 v[55:56], v58, s[8:9] offset:48
	global_load_dwordx2 v[85:86], v58, s[8:9] offset:96
	;; [unrolled: 1-line block ×15, first 2 shown]
	ds_read2_b64 v[42:45], v62 offset1:6
	ds_read2_b64 v[46:49], v62 offset0:12 offset1:18
	global_load_dwordx2 v[113:114], v58, s[8:9] offset:768
	ds_read2_b64 v[65:68], v62 offset0:24 offset1:30
	ds_read2_b64 v[69:72], v62 offset0:36 offset1:42
	;; [unrolled: 1-line block ×5, first 2 shown]
	s_waitcnt vmcnt(13) lgkmcnt(5)
	v_mul_f32_e32 v117, v49, v88
	s_waitcnt vmcnt(12) lgkmcnt(4)
	v_mul_f32_e32 v118, v66, v90
	s_waitcnt vmcnt(11)
	v_mul_f32_e32 v119, v68, v92
	s_waitcnt vmcnt(10) lgkmcnt(3)
	v_mul_f32_e32 v120, v70, v94
	s_waitcnt vmcnt(9)
	;; [unrolled: 4-line block ×4, first 2 shown]
	v_mul_f32_e32 v125, v80, v104
	v_mul_f32_e32 v115, v43, v51
	;; [unrolled: 1-line block ×3, first 2 shown]
	v_fma_f32 v115, v42, v50, -v115
	v_fmac_f32_e32 v116, v43, v50
	v_mul_f32_e32 v42, v45, v56
	v_mul_f32_e32 v43, v44, v56
	;; [unrolled: 1-line block ×13, first 2 shown]
	v_fma_f32 v42, v44, v55, -v42
	v_fmac_f32_e32 v43, v45, v55
	v_fma_f32 v50, v46, v85, -v50
	v_fmac_f32_e32 v51, v47, v85
	;; [unrolled: 2-line block ×11, first 2 shown]
	ds_write2_b64 v62, v[115:116], v[42:43] offset1:6
	ds_write2_b64 v62, v[50:51], v[55:56] offset0:12 offset1:18
	ds_write2_b64 v62, v[85:86], v[87:88] offset0:24 offset1:30
	;; [unrolled: 1-line block ×5, first 2 shown]
	ds_read2_b64 v[42:45], v62 offset0:84 offset1:90
	s_waitcnt vmcnt(4) lgkmcnt(7)
	v_mul_f32_e32 v104, v82, v106
	v_mul_f32_e32 v102, v81, v106
	s_waitcnt vmcnt(3)
	v_mul_f32_e32 v106, v84, v108
	v_mul_f32_e32 v47, v83, v108
	v_fma_f32 v101, v81, v105, -v104
	v_fmac_f32_e32 v102, v82, v105
	v_fma_f32 v46, v83, v107, -v106
	v_fmac_f32_e32 v47, v84, v107
	ds_write2_b64 v62, v[101:102], v[46:47] offset0:72 offset1:78
	s_waitcnt vmcnt(2) lgkmcnt(1)
	v_mul_f32_e32 v46, v43, v110
	v_mul_f32_e32 v47, v42, v110
	v_fma_f32 v46, v42, v109, -v46
	v_fmac_f32_e32 v47, v43, v109
	ds_read_b64 v[42:43], v62 offset:768
	s_waitcnt vmcnt(1)
	v_mul_f32_e32 v48, v45, v112
	v_mul_f32_e32 v49, v44, v112
	v_fma_f32 v48, v44, v111, -v48
	v_fmac_f32_e32 v49, v45, v111
	s_waitcnt vmcnt(0) lgkmcnt(0)
	v_mul_f32_e32 v44, v43, v114
	v_mul_f32_e32 v45, v42, v114
	v_fma_f32 v44, v42, v113, -v44
	v_fmac_f32_e32 v45, v43, v113
	ds_write2_b64 v62, v[46:47], v[48:49] offset0:84 offset1:90
	ds_write_b64 v62, v[44:45] offset:768
.LBB0_9:
	s_or_b64 exec, exec, s[4:5]
	s_waitcnt lgkmcnt(0)
	s_barrier
	s_and_saveexec_b64 s[4:5], vcc
	s_cbranch_execz .LBB0_11
; %bb.10:
	ds_read2_b64 v[28:31], v62 offset1:6
	ds_read2_b64 v[32:35], v62 offset0:12 offset1:18
	ds_read2_b64 v[36:39], v62 offset0:24 offset1:30
	;; [unrolled: 1-line block ×7, first 2 shown]
	ds_read_b64 v[53:54], v62 offset:768
.LBB0_11:
	s_or_b64 exec, exec, s[4:5]
	s_waitcnt lgkmcnt(0)
	s_barrier
	s_and_saveexec_b64 s[4:5], vcc
	s_cbranch_execz .LBB0_13
; %bb.12:
	v_add_f32_e32 v107, v54, v31
	v_mul_f32_e32 v81, 0xbf7ba420, v107
	v_add_f32_e32 v108, v3, v33
	v_sub_f32_e32 v65, v30, v53
	v_mov_b32_e32 v42, v81
	v_mul_f32_e32 v82, 0x3f6eb680, v108
	v_fmac_f32_e32 v42, 0x3e3c28d5, v65
	v_sub_f32_e32 v66, v32, v2
	v_mov_b32_e32 v43, v82
	v_add_f32_e32 v109, v1, v35
	v_add_f32_e32 v42, v29, v42
	v_fmac_f32_e32 v43, 0xbeb8f4ab, v66
	v_mul_f32_e32 v83, 0xbf59a7d5, v109
	v_add_f32_e32 v42, v43, v42
	v_sub_f32_e32 v67, v34, v0
	v_mov_b32_e32 v43, v83
	v_add_f32_e32 v110, v7, v37
	v_fmac_f32_e32 v43, 0x3f06c442, v67
	v_mul_f32_e32 v84, 0x3f3d2fb0, v110
	v_add_f32_e32 v42, v43, v42
	v_sub_f32_e32 v68, v36, v6
	v_mov_b32_e32 v43, v84
	;; [unrolled: 6-line block ×6, first 2 shown]
	v_sub_f32_e32 v115, v31, v54
	v_fmac_f32_e32 v43, 0xbf7ee86f, v72
	v_mul_f32_e32 v89, 0xbe3c28d5, v115
	v_sub_f32_e32 v116, v33, v3
	v_add_f32_e32 v43, v43, v42
	v_add_f32_e32 v73, v53, v30
	v_mov_b32_e32 v42, v89
	v_mul_f32_e32 v90, 0x3eb8f4ab, v116
	v_fmac_f32_e32 v42, 0xbf7ba420, v73
	v_add_f32_e32 v74, v2, v32
	v_mov_b32_e32 v44, v90
	v_sub_f32_e32 v117, v35, v1
	v_add_f32_e32 v42, v28, v42
	v_fmac_f32_e32 v44, 0x3f6eb680, v74
	v_mul_f32_e32 v91, 0xbf06c442, v117
	v_add_f32_e32 v42, v44, v42
	v_add_f32_e32 v75, v0, v34
	v_mov_b32_e32 v44, v91
	v_sub_f32_e32 v118, v37, v7
	v_fmac_f32_e32 v44, 0xbf59a7d5, v75
	v_mul_f32_e32 v92, 0x3f2c7751, v118
	v_add_f32_e32 v42, v44, v42
	v_add_f32_e32 v76, v6, v36
	v_mov_b32_e32 v44, v92
	v_sub_f32_e32 v119, v39, v5
	;; [unrolled: 6-line block ×5, first 2 shown]
	v_fmac_f32_e32 v44, 0xbe8c1d8e, v79
	v_mul_f32_e32 v96, 0x3f7ee86f, v122
	v_add_f32_e32 v42, v44, v42
	v_add_f32_e32 v80, v26, v24
	v_mov_b32_e32 v44, v96
	v_fmac_f32_e32 v44, 0x3dbcf732, v80
	v_mul_f32_e32 v97, 0xbf59a7d5, v107
	v_add_f32_e32 v42, v44, v42
	v_mov_b32_e32 v44, v97
	v_mul_f32_e32 v98, 0x3ee437d1, v108
	v_fmac_f32_e32 v44, 0x3f06c442, v65
	v_mov_b32_e32 v45, v98
	v_add_f32_e32 v44, v29, v44
	v_fmac_f32_e32 v45, 0xbf65296c, v66
	v_mul_f32_e32 v99, 0x3dbcf732, v109
	v_add_f32_e32 v44, v45, v44
	v_mov_b32_e32 v45, v99
	v_fmac_f32_e32 v45, 0x3f7ee86f, v67
	v_mul_f32_e32 v100, 0xbf1a4643, v110
	v_add_f32_e32 v44, v45, v44
	v_mov_b32_e32 v45, v100
	v_fmac_f32_e32 v45, 0xbf4c4adb, v68
	v_mul_f32_e32 v101, 0x3f6eb680, v111
	v_add_f32_e32 v44, v45, v44
	v_mov_b32_e32 v45, v101
	v_fmac_f32_e32 v45, 0x3eb8f4ab, v69
	v_mul_f32_e32 v102, 0xbf7ba420, v112
	v_add_f32_e32 v44, v45, v44
	v_mov_b32_e32 v45, v102
	v_fmac_f32_e32 v45, 0x3e3c28d5, v70
	v_mul_f32_e32 v103, 0x3f3d2fb0, v113
	v_add_f32_e32 v44, v45, v44
	v_mov_b32_e32 v45, v103
	v_fmac_f32_e32 v45, 0xbf2c7751, v71
	v_mul_f32_e32 v104, 0xbe8c1d8e, v114
	v_add_f32_e32 v44, v45, v44
	v_mov_b32_e32 v45, v104
	v_fmac_f32_e32 v45, 0x3f763a35, v72
	v_mul_f32_e32 v123, 0xbf06c442, v115
	v_add_f32_e32 v45, v45, v44
	v_mov_b32_e32 v44, v123
	v_mul_f32_e32 v124, 0x3f65296c, v116
	v_fmac_f32_e32 v44, 0xbf59a7d5, v73
	v_mov_b32_e32 v46, v124
	v_add_f32_e32 v44, v28, v44
	v_fmac_f32_e32 v46, 0x3ee437d1, v74
	v_mul_f32_e32 v125, 0xbf7ee86f, v117
	v_add_f32_e32 v44, v46, v44
	v_mov_b32_e32 v46, v125
	v_fmac_f32_e32 v46, 0x3dbcf732, v75
	v_mul_f32_e32 v126, 0x3f4c4adb, v118
	v_add_f32_e32 v44, v46, v44
	v_mov_b32_e32 v46, v126
	v_fmac_f32_e32 v46, 0xbf1a4643, v76
	v_mul_f32_e32 v127, 0xbeb8f4ab, v119
	v_add_f32_e32 v44, v46, v44
	v_mov_b32_e32 v46, v127
	v_fmac_f32_e32 v46, 0x3f6eb680, v77
	v_mul_f32_e32 v128, 0xbe3c28d5, v120
	v_add_f32_e32 v44, v46, v44
	v_mov_b32_e32 v46, v128
	v_fmac_f32_e32 v46, 0xbf7ba420, v78
	v_mul_f32_e32 v129, 0x3f2c7751, v121
	v_add_f32_e32 v44, v46, v44
	v_mov_b32_e32 v46, v129
	v_fmac_f32_e32 v46, 0x3f3d2fb0, v79
	v_mul_f32_e32 v130, 0xbf763a35, v122
	;; [unrolled: 32-line block ×4, first 2 shown]
	v_add_f32_e32 v46, v48, v46
	v_mov_b32_e32 v48, v146
	v_fmac_f32_e32 v48, 0x3ee437d1, v80
	v_mul_f32_e32 v147, 0xbe8c1d8e, v107
	v_add_f32_e32 v46, v48, v46
	v_mov_b32_e32 v48, v147
	v_mul_f32_e32 v148, 0xbf59a7d5, v108
	v_fmac_f32_e32 v48, 0x3f763a35, v65
	v_mov_b32_e32 v49, v148
	v_add_f32_e32 v48, v29, v48
	v_fmac_f32_e32 v49, 0xbf06c442, v66
	v_mul_f32_e32 v149, 0x3f3d2fb0, v109
	v_add_f32_e32 v48, v49, v48
	v_mov_b32_e32 v49, v149
	v_fmac_f32_e32 v49, 0xbf2c7751, v67
	v_mul_f32_e32 v150, 0x3ee437d1, v110
	v_add_f32_e32 v48, v49, v48
	v_mov_b32_e32 v49, v150
	;; [unrolled: 4-line block ×4, first 2 shown]
	v_add_f32_e32 v31, v31, v29
	v_fmac_f32_e32 v49, 0xbf7ee86f, v70
	v_mul_f32_e32 v153, 0x3f6eb680, v113
	v_add_f32_e32 v31, v33, v31
	v_add_f32_e32 v48, v49, v48
	v_mov_b32_e32 v49, v153
	v_add_f32_e32 v31, v35, v31
	v_fmac_f32_e32 v49, 0x3eb8f4ab, v71
	v_mul_f32_e32 v154, 0xbf1a4643, v114
	v_add_f32_e32 v31, v37, v31
	v_add_f32_e32 v48, v49, v48
	v_mov_b32_e32 v49, v154
	;; [unrolled: 6-line block ×3, first 2 shown]
	v_mul_f32_e32 v156, 0x3f06c442, v116
	v_add_f32_e32 v9, v11, v9
	v_fmac_f32_e32 v48, 0xbe8c1d8e, v73
	v_mov_b32_e32 v50, v156
	v_add_f32_e32 v9, v25, v9
	v_add_f32_e32 v48, v28, v48
	v_fmac_f32_e32 v50, 0xbf59a7d5, v74
	v_mul_f32_e32 v157, 0x3f2c7751, v117
	v_add_f32_e32 v9, v27, v9
	v_add_f32_e32 v48, v50, v48
	v_mov_b32_e32 v50, v157
	v_add_f32_e32 v9, v13, v9
	v_fmac_f32_e32 v50, 0x3f3d2fb0, v75
	v_mul_f32_e32 v158, 0xbf65296c, v118
	v_add_f32_e32 v9, v15, v9
	v_add_f32_e32 v48, v50, v48
	v_mov_b32_e32 v50, v158
	;; [unrolled: 6-line block ×3, first 2 shown]
	v_add_f32_e32 v1, v1, v5
	v_fmac_f32_e32 v50, 0xbf7ba420, v77
	v_mul_f32_e32 v160, 0x3f7ee86f, v120
	v_add_f32_e32 v1, v3, v1
	v_add_f32_e32 v3, v30, v28
	;; [unrolled: 1-line block ×3, first 2 shown]
	v_mov_b32_e32 v50, v160
	v_add_f32_e32 v3, v32, v3
	v_fmac_f32_e32 v50, 0x3dbcf732, v78
	v_mul_f32_e32 v161, 0xbeb8f4ab, v121
	v_add_f32_e32 v3, v34, v3
	v_add_f32_e32 v48, v50, v48
	v_mov_b32_e32 v50, v161
	v_add_f32_e32 v3, v36, v3
	v_fmac_f32_e32 v50, 0x3f6eb680, v79
	v_mul_f32_e32 v162, 0xbf4c4adb, v122
	v_add_f32_e32 v3, v38, v3
	v_add_f32_e32 v48, v50, v48
	;; [unrolled: 6-line block ×3, first 2 shown]
	v_mov_b32_e32 v50, v163
	v_mul_f32_e32 v164, 0xbf7ba420, v108
	v_add_f32_e32 v3, v24, v3
	v_fmac_f32_e32 v50, 0x3f7ee86f, v65
	v_mov_b32_e32 v51, v164
	v_add_f32_e32 v3, v26, v3
	v_add_f32_e32 v50, v29, v50
	v_fmac_f32_e32 v51, 0x3e3c28d5, v66
	v_mul_f32_e32 v165, 0xbe8c1d8e, v109
	v_add_f32_e32 v3, v12, v3
	v_add_f32_e32 v50, v51, v50
	v_mov_b32_e32 v51, v165
	v_add_f32_e32 v3, v14, v3
	v_fmac_f32_e32 v51, 0xbf763a35, v67
	v_mul_f32_e32 v166, 0x3f6eb680, v110
	v_add_f32_e32 v3, v4, v3
	v_add_f32_e32 v50, v51, v50
	v_mov_b32_e32 v51, v166
	v_add_f32_e32 v3, v6, v3
	v_fmac_f32_e32 v51, 0xbeb8f4ab, v68
	v_mul_f32_e32 v167, 0x3ee437d1, v111
	v_add_f32_e32 v0, v0, v3
	v_fmac_f32_e32 v81, 0xbe3c28d5, v65
	v_add_f32_e32 v50, v51, v50
	v_mov_b32_e32 v51, v167
	v_add_f32_e32 v0, v2, v0
	v_add_f32_e32 v2, v29, v81
	v_fmac_f32_e32 v82, 0x3eb8f4ab, v66
	v_fmac_f32_e32 v51, 0x3f65296c, v69
	v_mul_f32_e32 v168, 0xbf59a7d5, v112
	v_add_f32_e32 v2, v82, v2
	v_fmac_f32_e32 v83, 0xbf06c442, v67
	v_add_f32_e32 v50, v51, v50
	v_mov_b32_e32 v51, v168
	v_add_f32_e32 v2, v83, v2
	v_fmac_f32_e32 v84, 0x3f2c7751, v68
	v_fmac_f32_e32 v51, 0x3f06c442, v70
	v_mul_f32_e32 v169, 0xbf1a4643, v113
	v_add_f32_e32 v2, v84, v2
	v_fmac_f32_e32 v85, 0xbf4c4adb, v69
	v_add_f32_e32 v50, v51, v50
	v_mov_b32_e32 v51, v169
	v_add_f32_e32 v2, v85, v2
	v_fmac_f32_e32 v86, 0x3f65296c, v70
	v_fmac_f32_e32 v51, 0xbf4c4adb, v71
	v_mul_f32_e32 v170, 0x3f3d2fb0, v114
	v_add_f32_e32 v2, v86, v2
	v_fmac_f32_e32 v87, 0xbf763a35, v71
	s_mov_b32 s8, 0xbf7ba420
	v_add_f32_e32 v50, v51, v50
	v_mov_b32_e32 v51, v170
	v_add_f32_e32 v2, v87, v2
	v_fmac_f32_e32 v88, 0x3f7ee86f, v72
	s_mov_b32 s10, 0x3f6eb680
	v_fmac_f32_e32 v51, 0xbf2c7751, v72
	v_mul_f32_e32 v171, 0xbf7ee86f, v115
	v_add_f32_e32 v3, v88, v2
	v_fma_f32 v2, v73, s8, -v89
	s_mov_b32 s9, 0xbf59a7d5
	v_add_f32_e32 v51, v51, v50
	v_mov_b32_e32 v50, v171
	v_mul_f32_e32 v172, 0xbe3c28d5, v116
	v_add_f32_e32 v2, v28, v2
	v_fma_f32 v4, v74, s10, -v90
	s_mov_b32 s14, 0x3f3d2fb0
	v_fmac_f32_e32 v50, 0x3dbcf732, v73
	v_mov_b32_e32 v55, v172
	v_add_f32_e32 v2, v4, v2
	v_fma_f32 v4, v75, s9, -v91
	v_add_f32_e32 v50, v28, v50
	v_fmac_f32_e32 v55, 0xbf7ba420, v74
	v_mul_f32_e32 v173, 0x3f763a35, v117
	v_add_f32_e32 v2, v4, v2
	v_fma_f32 v4, v76, s14, -v92
	s_mov_b32 s15, 0x3ee437d1
	v_add_f32_e32 v50, v55, v50
	v_mov_b32_e32 v55, v173
	v_add_f32_e32 v2, v4, v2
	v_fma_f32 v4, v77, s11, -v93
	s_mov_b32 s16, 0xbe8c1d8e
	v_fmac_f32_e32 v55, 0xbe8c1d8e, v75
	v_mul_f32_e32 v174, 0x3eb8f4ab, v118
	v_add_f32_e32 v2, v4, v2
	v_fma_f32 v4, v78, s15, -v94
	s_mov_b32 s17, 0x3dbcf732
	v_add_f32_e32 v50, v55, v50
	v_mov_b32_e32 v55, v174
	v_add_f32_e32 v2, v4, v2
	v_fma_f32 v4, v79, s16, -v95
	v_fmac_f32_e32 v55, 0x3f6eb680, v76
	v_mul_f32_e32 v175, 0xbf65296c, v119
	v_add_f32_e32 v2, v4, v2
	v_fma_f32 v4, v80, s17, -v96
	v_fmac_f32_e32 v97, 0xbf06c442, v65
	v_add_f32_e32 v50, v55, v50
	v_mov_b32_e32 v55, v175
	v_add_f32_e32 v2, v4, v2
	v_add_f32_e32 v4, v29, v97
	v_fmac_f32_e32 v98, 0x3f65296c, v66
	v_fmac_f32_e32 v55, 0x3ee437d1, v77
	v_mul_f32_e32 v176, 0xbf06c442, v120
	v_add_f32_e32 v4, v98, v4
	v_fmac_f32_e32 v99, 0xbf7ee86f, v67
	v_add_f32_e32 v50, v55, v50
	v_mov_b32_e32 v55, v176
	v_add_f32_e32 v4, v99, v4
	v_fmac_f32_e32 v100, 0x3f4c4adb, v68
	v_fmac_f32_e32 v55, 0xbf59a7d5, v78
	v_mul_f32_e32 v177, 0x3f4c4adb, v121
	v_add_f32_e32 v4, v100, v4
	v_fmac_f32_e32 v101, 0xbeb8f4ab, v69
	v_add_f32_e32 v50, v55, v50
	v_mov_b32_e32 v55, v177
	v_add_f32_e32 v4, v101, v4
	v_fmac_f32_e32 v102, 0xbe3c28d5, v70
	v_fmac_f32_e32 v55, 0xbf1a4643, v79
	v_mul_f32_e32 v178, 0x3f2c7751, v122
	v_add_f32_e32 v4, v102, v4
	v_fmac_f32_e32 v103, 0x3f2c7751, v71
	v_add_f32_e32 v50, v55, v50
	v_mov_b32_e32 v55, v178
	v_add_f32_e32 v4, v103, v4
	v_fmac_f32_e32 v104, 0xbf763a35, v72
	v_fmac_f32_e32 v55, 0x3f3d2fb0, v80
	v_mul_f32_e32 v179, 0x3ee437d1, v107
	v_add_f32_e32 v5, v104, v4
	v_fma_f32 v4, v73, s9, -v123
	v_add_f32_e32 v50, v55, v50
	v_mov_b32_e32 v55, v179
	v_mul_f32_e32 v180, 0xbf1a4643, v108
	v_add_f32_e32 v4, v28, v4
	v_fma_f32 v6, v74, s15, -v124
	v_fmac_f32_e32 v55, 0x3f65296c, v65
	v_mov_b32_e32 v56, v180
	v_add_f32_e32 v4, v6, v4
	v_fma_f32 v6, v75, s17, -v125
	v_add_f32_e32 v55, v29, v55
	v_fmac_f32_e32 v56, 0x3f4c4adb, v66
	v_mul_f32_e32 v181, 0xbf7ba420, v109
	v_add_f32_e32 v4, v6, v4
	v_fma_f32 v6, v76, s11, -v126
	v_add_f32_e32 v55, v56, v55
	v_mov_b32_e32 v56, v181
	v_add_f32_e32 v4, v6, v4
	v_fma_f32 v6, v77, s10, -v127
	v_fmac_f32_e32 v56, 0xbe3c28d5, v67
	v_mul_f32_e32 v182, 0xbe8c1d8e, v110
	v_add_f32_e32 v4, v6, v4
	v_fma_f32 v6, v78, s8, -v128
	v_add_f32_e32 v55, v56, v55
	v_mov_b32_e32 v56, v182
	v_add_f32_e32 v4, v6, v4
	v_fma_f32 v6, v79, s14, -v129
	v_fmac_f32_e32 v56, 0xbf763a35, v68
	v_mul_f32_e32 v183, 0x3f3d2fb0, v111
	v_add_f32_e32 v4, v6, v4
	v_fma_f32 v6, v80, s16, -v130
	v_fmac_f32_e32 v131, 0xbf4c4adb, v65
	v_add_f32_e32 v55, v56, v55
	v_mov_b32_e32 v56, v183
	v_add_f32_e32 v4, v6, v4
	v_add_f32_e32 v6, v29, v131
	v_fmac_f32_e32 v132, 0x3f763a35, v66
	v_fmac_f32_e32 v56, 0xbf2c7751, v69
	v_mul_f32_e32 v184, 0x3f6eb680, v112
	v_add_f32_e32 v6, v132, v6
	v_fmac_f32_e32 v133, 0xbeb8f4ab, v67
	v_add_f32_e32 v55, v56, v55
	v_mov_b32_e32 v56, v184
	v_add_f32_e32 v6, v133, v6
	v_fmac_f32_e32 v134, 0xbf06c442, v68
	v_fmac_f32_e32 v56, 0x3eb8f4ab, v70
	v_mul_f32_e32 v185, 0x3dbcf732, v113
	v_add_f32_e32 v6, v134, v6
	v_fmac_f32_e32 v135, 0x3f7ee86f, v69
	v_add_f32_e32 v55, v56, v55
	v_mov_b32_e32 v56, v185
	v_add_f32_e32 v6, v135, v6
	v_fmac_f32_e32 v136, 0xbf2c7751, v70
	v_fmac_f32_e32 v56, 0x3f7ee86f, v71
	v_mul_f32_e32 v186, 0xbf59a7d5, v114
	v_add_f32_e32 v6, v136, v6
	v_fmac_f32_e32 v137, 0xbe3c28d5, v71
	v_add_f32_e32 v55, v56, v55
	v_mov_b32_e32 v56, v186
	v_add_f32_e32 v6, v137, v6
	v_fmac_f32_e32 v138, 0x3f65296c, v72
	v_fmac_f32_e32 v56, 0x3f06c442, v72
	v_mul_f32_e32 v187, 0xbf65296c, v115
	v_add_f32_e32 v7, v138, v6
	v_fma_f32 v6, v73, s11, -v139
	v_add_f32_e32 v56, v56, v55
	v_mov_b32_e32 v55, v187
	v_mul_f32_e32 v188, 0xbf4c4adb, v116
	v_add_f32_e32 v6, v28, v6
	v_fma_f32 v8, v74, s16, -v140
	v_fmac_f32_e32 v55, 0x3ee437d1, v73
	v_mov_b32_e32 v105, v188
	v_add_f32_e32 v6, v8, v6
	v_fma_f32 v8, v75, s10, -v141
	v_add_f32_e32 v55, v28, v55
	v_fmac_f32_e32 v105, 0xbf1a4643, v74
	v_mul_f32_e32 v189, 0x3e3c28d5, v117
	v_add_f32_e32 v6, v8, v6
	v_fma_f32 v8, v76, s9, -v142
	v_add_f32_e32 v55, v105, v55
	v_mov_b32_e32 v105, v189
	v_add_f32_e32 v6, v8, v6
	v_fma_f32 v8, v77, s17, -v143
	v_fmac_f32_e32 v105, 0xbf7ba420, v75
	v_mul_f32_e32 v190, 0x3f763a35, v118
	v_add_f32_e32 v6, v8, v6
	v_fma_f32 v8, v78, s14, -v144
	;; [unrolled: 64-line block ×3, first 2 shown]
	v_add_f32_e32 v105, v106, v105
	v_mov_b32_e32 v106, v198
	v_add_f32_e32 v8, v10, v8
	v_fma_f32 v10, v79, s10, -v161
	v_fmac_f32_e32 v106, 0x3e3c28d5, v68
	v_mul_f32_e32 v199, 0xbf59a7d5, v111
	v_add_f32_e32 v8, v10, v8
	v_fma_f32 v10, v80, s11, -v162
	v_fmac_f32_e32 v163, 0xbf7ee86f, v65
	v_add_f32_e32 v105, v106, v105
	v_mov_b32_e32 v106, v199
	v_add_f32_e32 v8, v10, v8
	v_add_f32_e32 v10, v29, v163
	v_fmac_f32_e32 v164, 0xbe3c28d5, v66
	v_fmac_f32_e32 v106, 0xbf06c442, v69
	v_mul_f32_e32 v200, 0xbe8c1d8e, v112
	v_add_f32_e32 v10, v164, v10
	v_fmac_f32_e32 v165, 0x3f763a35, v67
	v_add_f32_e32 v105, v106, v105
	v_mov_b32_e32 v106, v200
	v_add_f32_e32 v10, v165, v10
	v_fmac_f32_e32 v166, 0x3eb8f4ab, v68
	v_fmac_f32_e32 v106, 0xbf763a35, v70
	v_mul_f32_e32 v201, 0x3ee437d1, v113
	v_add_f32_e32 v10, v166, v10
	v_fmac_f32_e32 v167, 0xbf65296c, v69
	v_add_f32_e32 v105, v106, v105
	v_mov_b32_e32 v106, v201
	v_add_f32_e32 v10, v167, v10
	v_fmac_f32_e32 v168, 0xbf06c442, v70
	v_fmac_f32_e32 v106, 0xbf65296c, v71
	v_mul_f32_e32 v202, 0x3f6eb680, v114
	v_add_f32_e32 v10, v168, v10
	v_fmac_f32_e32 v169, 0x3f4c4adb, v71
	v_add_f32_e32 v105, v106, v105
	v_mov_b32_e32 v106, v202
	v_add_f32_e32 v10, v169, v10
	v_fmac_f32_e32 v170, 0x3f2c7751, v72
	v_fmac_f32_e32 v106, 0xbeb8f4ab, v72
	v_mul_f32_e32 v203, 0xbf2c7751, v115
	v_add_f32_e32 v11, v170, v10
	v_fma_f32 v10, v73, s17, -v171
	v_add_f32_e32 v106, v106, v105
	v_mov_b32_e32 v105, v203
	v_mul_f32_e32 v204, 0xbf7ee86f, v116
	v_add_f32_e32 v10, v28, v10
	v_fma_f32 v12, v74, s8, -v172
	v_fmac_f32_e32 v105, 0x3f3d2fb0, v73
	v_mov_b32_e32 v205, v204
	v_add_f32_e32 v10, v12, v10
	v_fma_f32 v12, v75, s16, -v173
	v_add_f32_e32 v105, v28, v105
	v_fmac_f32_e32 v205, 0x3dbcf732, v74
	v_add_f32_e32 v10, v12, v10
	v_fma_f32 v12, v76, s10, -v174
	v_add_f32_e32 v105, v205, v105
	v_mul_f32_e32 v205, 0xbf4c4adb, v117
	v_add_f32_e32 v10, v12, v10
	v_fma_f32 v12, v77, s15, -v175
	v_mov_b32_e32 v206, v205
	v_add_f32_e32 v10, v12, v10
	v_fma_f32 v12, v78, s9, -v176
	v_fmac_f32_e32 v206, 0xbf1a4643, v75
	v_add_f32_e32 v10, v12, v10
	v_fma_f32 v12, v79, s11, -v177
	v_add_f32_e32 v105, v206, v105
	v_mul_f32_e32 v206, 0xbe3c28d5, v118
	v_add_f32_e32 v10, v12, v10
	v_fma_f32 v12, v80, s14, -v178
	v_fmac_f32_e32 v179, 0xbf65296c, v65
	v_mov_b32_e32 v207, v206
	v_add_f32_e32 v10, v12, v10
	v_add_f32_e32 v12, v29, v179
	v_fmac_f32_e32 v180, 0xbf4c4adb, v66
	v_fmac_f32_e32 v207, 0xbf7ba420, v76
	v_add_f32_e32 v12, v180, v12
	v_fmac_f32_e32 v181, 0x3e3c28d5, v67
	v_add_f32_e32 v105, v207, v105
	v_mul_f32_e32 v207, 0x3f06c442, v119
	v_add_f32_e32 v12, v181, v12
	v_fmac_f32_e32 v182, 0x3f763a35, v68
	v_mov_b32_e32 v208, v207
	v_add_f32_e32 v12, v182, v12
	v_fmac_f32_e32 v183, 0x3f2c7751, v69
	v_fmac_f32_e32 v208, 0xbf59a7d5, v77
	v_add_f32_e32 v12, v183, v12
	v_fmac_f32_e32 v184, 0xbeb8f4ab, v70
	v_add_f32_e32 v105, v208, v105
	v_mul_f32_e32 v208, 0x3f763a35, v120
	v_add_f32_e32 v12, v184, v12
	v_fmac_f32_e32 v185, 0xbf7ee86f, v71
	v_mov_b32_e32 v209, v208
	v_add_f32_e32 v12, v185, v12
	v_fmac_f32_e32 v186, 0xbf06c442, v72
	v_fmac_f32_e32 v209, 0xbe8c1d8e, v78
	v_add_f32_e32 v13, v186, v12
	v_fma_f32 v12, v73, s15, -v187
	v_add_f32_e32 v105, v209, v105
	v_mul_f32_e32 v209, 0x3f65296c, v121
	v_add_f32_e32 v12, v28, v12
	v_fma_f32 v14, v74, s11, -v188
	v_mov_b32_e32 v210, v209
	v_add_f32_e32 v12, v14, v12
	v_fma_f32 v14, v75, s8, -v189
	v_fmac_f32_e32 v210, 0x3ee437d1, v79
	v_add_f32_e32 v12, v14, v12
	v_fma_f32 v14, v76, s16, -v190
	v_add_f32_e32 v105, v210, v105
	v_mul_f32_e32 v210, 0x3eb8f4ab, v122
	v_add_f32_e32 v12, v14, v12
	v_fma_f32 v14, v77, s14, -v191
	v_mov_b32_e32 v211, v210
	v_add_f32_e32 v12, v14, v12
	v_fma_f32 v14, v78, s10, -v192
	v_fmac_f32_e32 v211, 0x3f6eb680, v80
	v_add_f32_e32 v12, v14, v12
	v_fma_f32 v14, v79, s17, -v193
	v_add_f32_e32 v105, v211, v105
	v_mul_f32_e32 v211, 0x3f6eb680, v107
	v_add_f32_e32 v12, v14, v12
	v_fma_f32 v14, v80, s9, -v194
	v_fmac_f32_e32 v195, 0xbf2c7751, v65
	v_mov_b32_e32 v107, v211
	v_mul_f32_e32 v212, 0x3f3d2fb0, v108
	v_add_f32_e32 v12, v14, v12
	v_add_f32_e32 v14, v29, v195
	v_fmac_f32_e32 v196, 0xbf7ee86f, v66
	v_fmac_f32_e32 v107, 0x3eb8f4ab, v65
	v_mov_b32_e32 v108, v212
	v_add_f32_e32 v14, v196, v14
	v_fmac_f32_e32 v197, 0xbf4c4adb, v67
	v_add_f32_e32 v107, v29, v107
	v_fmac_f32_e32 v108, 0x3f2c7751, v66
	v_mul_f32_e32 v109, 0x3ee437d1, v109
	v_add_f32_e32 v14, v197, v14
	v_fmac_f32_e32 v198, 0xbe3c28d5, v68
	v_add_f32_e32 v107, v108, v107
	v_mov_b32_e32 v108, v109
	v_add_f32_e32 v14, v198, v14
	v_fmac_f32_e32 v199, 0x3f06c442, v69
	v_fmac_f32_e32 v108, 0x3f65296c, v67
	v_mul_f32_e32 v110, 0x3dbcf732, v110
	v_add_f32_e32 v14, v199, v14
	v_fmac_f32_e32 v200, 0x3f763a35, v70
	v_add_f32_e32 v107, v108, v107
	v_mov_b32_e32 v108, v110
	v_add_f32_e32 v14, v200, v14
	v_fmac_f32_e32 v201, 0x3f65296c, v71
	v_fmac_f32_e32 v108, 0x3f7ee86f, v68
	v_mul_f32_e32 v111, 0xbe8c1d8e, v111
	v_add_f32_e32 v14, v201, v14
	v_fmac_f32_e32 v202, 0x3eb8f4ab, v72
	v_add_f32_e32 v107, v108, v107
	v_mov_b32_e32 v108, v111
	v_add_f32_e32 v15, v202, v14
	v_fma_f32 v14, v73, s14, -v203
	v_fmac_f32_e32 v108, 0x3f763a35, v69
	v_mul_f32_e32 v112, 0xbf1a4643, v112
	v_add_f32_e32 v14, v28, v14
	v_fma_f32 v24, v74, s17, -v204
	v_add_f32_e32 v107, v108, v107
	v_mov_b32_e32 v108, v112
	v_add_f32_e32 v14, v24, v14
	v_fma_f32 v24, v75, s11, -v205
	v_fmac_f32_e32 v108, 0x3f4c4adb, v70
	v_mul_f32_e32 v113, 0xbf59a7d5, v113
	v_add_f32_e32 v14, v24, v14
	v_fma_f32 v24, v76, s8, -v206
	;; [unrolled: 8-line block ×4, first 2 shown]
	v_fmac_f32_e32 v211, 0xbeb8f4ab, v65
	v_add_f32_e32 v108, v108, v107
	v_mov_b32_e32 v107, v115
	v_mul_f32_e32 v116, 0xbf2c7751, v116
	v_add_f32_e32 v14, v24, v14
	v_add_f32_e32 v24, v29, v211
	v_fmac_f32_e32 v212, 0xbf2c7751, v66
	v_fmac_f32_e32 v107, 0x3f6eb680, v73
	v_mov_b32_e32 v213, v116
	v_add_f32_e32 v24, v212, v24
	v_fmac_f32_e32 v109, 0xbf65296c, v67
	v_add_f32_e32 v107, v28, v107
	v_fmac_f32_e32 v213, 0x3f3d2fb0, v74
	v_mul_f32_e32 v117, 0xbf65296c, v117
	v_add_f32_e32 v24, v109, v24
	v_fmac_f32_e32 v110, 0xbf7ee86f, v68
	v_add_f32_e32 v107, v213, v107
	v_mov_b32_e32 v213, v117
	v_add_f32_e32 v24, v110, v24
	v_fmac_f32_e32 v111, 0xbf763a35, v69
	v_fmac_f32_e32 v213, 0x3ee437d1, v75
	v_mul_f32_e32 v118, 0xbf7ee86f, v118
	v_add_f32_e32 v24, v111, v24
	v_fmac_f32_e32 v112, 0xbf4c4adb, v70
	v_add_f32_e32 v107, v213, v107
	v_mov_b32_e32 v213, v118
	v_add_f32_e32 v24, v112, v24
	v_fmac_f32_e32 v113, 0xbf06c442, v71
	v_fmac_f32_e32 v213, 0x3dbcf732, v76
	v_mul_f32_e32 v119, 0xbf763a35, v119
	v_add_f32_e32 v24, v113, v24
	v_fmac_f32_e32 v114, 0xbe3c28d5, v72
	v_add_f32_e32 v107, v213, v107
	v_mov_b32_e32 v213, v119
	v_add_f32_e32 v25, v114, v24
	v_fma_f32 v24, v73, s10, -v115
	v_fmac_f32_e32 v213, 0xbe8c1d8e, v77
	v_mul_f32_e32 v120, 0xbf4c4adb, v120
	v_add_f32_e32 v24, v28, v24
	v_fma_f32 v26, v74, s14, -v116
	v_add_f32_e32 v107, v213, v107
	v_mov_b32_e32 v213, v120
	v_add_f32_e32 v24, v26, v24
	v_fma_f32 v26, v75, s15, -v117
	v_fmac_f32_e32 v213, 0xbf1a4643, v78
	v_mul_f32_e32 v121, 0xbf06c442, v121
	v_add_f32_e32 v24, v26, v24
	v_fma_f32 v26, v76, s17, -v118
	;; [unrolled: 8-line block ×3, first 2 shown]
	v_add_f32_e32 v107, v213, v107
	v_mov_b32_e32 v213, v122
	v_add_f32_e32 v24, v26, v24
	v_fma_f32 v26, v79, s9, -v121
	v_fmac_f32_e32 v213, 0xbf7ba420, v80
	v_add_f32_e32 v24, v26, v24
	v_fma_f32 v26, v80, s8, -v122
	v_add_f32_e32 v107, v213, v107
	v_add_f32_e32 v1, v54, v1
	;; [unrolled: 1-line block ×4, first 2 shown]
	v_lshl_add_u32 v26, v63, 3, v61
	ds_write2_b64 v26, v[0:1], v[107:108] offset1:1
	ds_write2_b64 v26, v[105:106], v[55:56] offset0:2 offset1:3
	ds_write2_b64 v26, v[50:51], v[48:49] offset0:4 offset1:5
	;; [unrolled: 1-line block ×7, first 2 shown]
	ds_write_b64 v26, v[24:25] offset:128
.LBB0_13:
	s_or_b64 exec, exec, s[4:5]
	s_waitcnt lgkmcnt(0)
	s_barrier
	ds_read2_b64 v[0:3], v64 offset1:17
	ds_read2_b64 v[4:7], v64 offset0:34 offset1:51
	ds_read2_b64 v[8:11], v64 offset0:68 offset1:85
	s_waitcnt lgkmcnt(2)
	v_mul_f32_e32 v12, v21, v3
	v_fmac_f32_e32 v12, v20, v2
	v_mul_f32_e32 v2, v21, v2
	v_fma_f32 v13, v20, v3, -v2
	s_waitcnt lgkmcnt(1)
	v_mul_f32_e32 v2, v23, v5
	v_mul_f32_e32 v3, v23, v4
	v_fmac_f32_e32 v2, v22, v4
	v_fma_f32 v3, v22, v5, -v3
	v_mul_f32_e32 v4, v17, v7
	v_mul_f32_e32 v5, v17, v6
	v_fmac_f32_e32 v4, v16, v6
	v_fma_f32 v5, v16, v7, -v5
	s_waitcnt lgkmcnt(0)
	v_mul_f32_e32 v6, v19, v9
	v_mul_f32_e32 v7, v19, v8
	v_fmac_f32_e32 v6, v18, v8
	v_fma_f32 v7, v18, v9, -v7
	v_mul_f32_e32 v9, v41, v10
	v_mul_f32_e32 v8, v41, v11
	v_fma_f32 v9, v40, v11, -v9
	v_add_f32_e32 v11, v2, v6
	v_fma_f32 v11, -0.5, v11, v0
	v_fmac_f32_e32 v8, v40, v10
	v_add_f32_e32 v10, v0, v2
	v_sub_f32_e32 v0, v3, v7
	v_mov_b32_e32 v14, v11
	v_fmac_f32_e32 v14, 0xbf5db3d7, v0
	v_fmac_f32_e32 v11, 0x3f5db3d7, v0
	v_add_f32_e32 v0, v1, v3
	v_add_f32_e32 v15, v0, v7
	;; [unrolled: 1-line block ×3, first 2 shown]
	v_fma_f32 v16, -0.5, v0, v1
	v_sub_f32_e32 v0, v2, v6
	v_mov_b32_e32 v17, v16
	v_fmac_f32_e32 v17, 0x3f5db3d7, v0
	v_fmac_f32_e32 v16, 0xbf5db3d7, v0
	v_add_f32_e32 v0, v12, v4
	v_add_f32_e32 v10, v10, v6
	;; [unrolled: 1-line block ×4, first 2 shown]
	v_fmac_f32_e32 v12, -0.5, v0
	v_sub_f32_e32 v0, v5, v9
	v_mov_b32_e32 v3, v12
	v_fmac_f32_e32 v3, 0xbf5db3d7, v0
	v_fmac_f32_e32 v12, 0x3f5db3d7, v0
	v_add_f32_e32 v0, v13, v5
	v_add_f32_e32 v7, v0, v9
	;; [unrolled: 1-line block ×3, first 2 shown]
	v_fmac_f32_e32 v13, -0.5, v0
	v_sub_f32_e32 v0, v4, v8
	v_mov_b32_e32 v5, v13
	v_fmac_f32_e32 v5, 0x3f5db3d7, v0
	v_fmac_f32_e32 v13, 0xbf5db3d7, v0
	v_mul_f32_e32 v8, 0xbf5db3d7, v5
	v_mul_f32_e32 v18, 0.5, v5
	v_fmac_f32_e32 v8, 0.5, v3
	v_mul_f32_e32 v9, 0xbf5db3d7, v13
	v_fmac_f32_e32 v18, 0x3f5db3d7, v3
	v_mul_f32_e32 v13, -0.5, v13
	v_add_f32_e32 v0, v10, v6
	v_add_f32_e32 v2, v14, v8
	v_fmac_f32_e32 v9, -0.5, v12
	v_add_f32_e32 v1, v15, v7
	v_add_f32_e32 v3, v17, v18
	v_fmac_f32_e32 v13, 0x3f5db3d7, v12
	v_add_f32_e32 v4, v11, v9
	v_add_f32_e32 v5, v16, v13
	v_sub_f32_e32 v6, v10, v6
	v_sub_f32_e32 v8, v14, v8
	;; [unrolled: 1-line block ×6, first 2 shown]
	ds_write2_b64 v62, v[0:1], v[2:3] offset1:17
	ds_write2_b64 v62, v[4:5], v[6:7] offset0:34 offset1:51
	ds_write2_b64 v62, v[8:9], v[10:11] offset0:68 offset1:85
	s_waitcnt lgkmcnt(0)
	s_barrier
	s_and_b64 exec, exec, vcc
	s_cbranch_execz .LBB0_15
; %bb.14:
	global_load_dwordx2 v[0:1], v58, s[6:7]
	ds_read_b64 v[4:5], v62
	v_mad_u64_u32 v[2:3], s[4:5], s2, v52, 0
	v_mad_u64_u32 v[6:7], s[4:5], s0, v57, 0
	s_waitcnt lgkmcnt(0)
	v_mad_u64_u32 v[8:9], s[2:3], s3, v52, v[3:4]
	s_mov_b32 s4, 0x14141414
	s_mov_b32 s5, 0x3f841414
	v_mad_u64_u32 v[9:10], s[2:3], s1, v57, v[7:8]
	v_mov_b32_e32 v11, s13
	s_mul_i32 s3, s1, 48
	v_mov_b32_e32 v7, v9
	v_lshlrev_b64 v[6:7], 3, v[6:7]
	s_mul_hi_u32 s8, s0, 48
	s_mul_i32 s2, s0, 48
	s_add_i32 s3, s8, s3
	s_mul_hi_u32 s10, s0, 0x60
	s_waitcnt vmcnt(0)
	v_mul_f32_e32 v3, v5, v1
	v_mul_f32_e32 v1, v4, v1
	v_fmac_f32_e32 v3, v4, v0
	v_fma_f32 v4, v0, v5, -v1
	v_cvt_f64_f32_e32 v[0:1], v3
	v_cvt_f64_f32_e32 v[4:5], v4
	v_mov_b32_e32 v3, v8
	v_lshlrev_b64 v[2:3], 3, v[2:3]
	v_mul_f64 v[0:1], v[0:1], s[4:5]
	v_mul_f64 v[4:5], v[4:5], s[4:5]
	v_add_co_u32_e32 v9, vcc, s12, v2
	v_addc_co_u32_e32 v10, vcc, v11, v3, vcc
	v_cvt_f32_f64_e32 v0, v[0:1]
	v_cvt_f32_f64_e32 v1, v[4:5]
	v_add_co_u32_e32 v4, vcc, v9, v6
	v_addc_co_u32_e32 v5, vcc, v10, v7, vcc
	global_store_dwordx2 v[4:5], v[0:1], off
	global_load_dwordx2 v[6:7], v58, s[6:7] offset:48
	ds_read2_b64 v[0:3], v62 offset0:6 offset1:12
	v_add_co_u32_e32 v4, vcc, s2, v4
	s_waitcnt vmcnt(0) lgkmcnt(0)
	v_mul_f32_e32 v8, v1, v7
	v_mul_f32_e32 v7, v0, v7
	v_fmac_f32_e32 v8, v0, v6
	v_fma_f32 v6, v6, v1, -v7
	v_cvt_f64_f32_e32 v[0:1], v8
	v_cvt_f64_f32_e32 v[6:7], v6
	v_mov_b32_e32 v8, s3
	v_addc_co_u32_e32 v5, vcc, v5, v8, vcc
	v_mul_f64 v[0:1], v[0:1], s[4:5]
	v_mul_f64 v[6:7], v[6:7], s[4:5]
	v_cvt_f32_f64_e32 v0, v[0:1]
	v_cvt_f32_f64_e32 v1, v[6:7]
	global_store_dwordx2 v[4:5], v[0:1], off
	global_load_dwordx2 v[0:1], v58, s[6:7] offset:96
	v_add_co_u32_e32 v4, vcc, s2, v4
	s_waitcnt vmcnt(0)
	v_mul_f32_e32 v6, v3, v1
	v_mul_f32_e32 v1, v2, v1
	v_fmac_f32_e32 v6, v2, v0
	v_fma_f32 v2, v0, v3, -v1
	v_cvt_f64_f32_e32 v[0:1], v6
	v_cvt_f64_f32_e32 v[2:3], v2
	v_mov_b32_e32 v6, s3
	v_addc_co_u32_e32 v5, vcc, v5, v6, vcc
	v_mul_f64 v[0:1], v[0:1], s[4:5]
	v_mul_f64 v[2:3], v[2:3], s[4:5]
	v_cvt_f32_f64_e32 v0, v[0:1]
	v_cvt_f32_f64_e32 v1, v[2:3]
	global_store_dwordx2 v[4:5], v[0:1], off
	global_load_dwordx2 v[6:7], v58, s[6:7] offset:144
	ds_read2_b64 v[0:3], v62 offset0:18 offset1:24
	v_add_co_u32_e32 v4, vcc, s2, v4
	s_waitcnt vmcnt(0) lgkmcnt(0)
	v_mul_f32_e32 v8, v1, v7
	v_mul_f32_e32 v7, v0, v7
	v_fmac_f32_e32 v8, v0, v6
	v_fma_f32 v6, v6, v1, -v7
	v_cvt_f64_f32_e32 v[0:1], v8
	v_cvt_f64_f32_e32 v[6:7], v6
	v_mov_b32_e32 v8, s3
	v_addc_co_u32_e32 v5, vcc, v5, v8, vcc
	v_mul_f64 v[0:1], v[0:1], s[4:5]
	v_mul_f64 v[6:7], v[6:7], s[4:5]
	v_cvt_f32_f64_e32 v0, v[0:1]
	v_cvt_f32_f64_e32 v1, v[6:7]
	v_mad_u64_u32 v[6:7], s[8:9], s0, v60, 0
	global_store_dwordx2 v[4:5], v[0:1], off
	global_load_dwordx2 v[0:1], v58, s[6:7] offset:192
	s_waitcnt vmcnt(0)
	v_mul_f32_e32 v8, v3, v1
	v_mul_f32_e32 v1, v2, v1
	v_fmac_f32_e32 v8, v2, v0
	v_fma_f32 v2, v0, v3, -v1
	v_cvt_f64_f32_e32 v[0:1], v8
	v_cvt_f64_f32_e32 v[2:3], v2
	v_mad_u64_u32 v[7:8], s[8:9], s1, v60, v[7:8]
	v_mul_f64 v[0:1], v[0:1], s[4:5]
	v_mul_f64 v[2:3], v[2:3], s[4:5]
	v_lshlrev_b64 v[6:7], 3, v[6:7]
	s_mul_i32 s9, s1, 0x60
	s_mul_i32 s8, s0, 0x60
	s_add_i32 s9, s10, s9
	v_cvt_f32_f64_e32 v0, v[0:1]
	v_cvt_f32_f64_e32 v1, v[2:3]
	v_add_co_u32_e32 v2, vcc, v9, v6
	v_addc_co_u32_e32 v3, vcc, v10, v7, vcc
	global_store_dwordx2 v[2:3], v[0:1], off
	global_load_dwordx2 v[6:7], v58, s[6:7] offset:240
	ds_read2_b64 v[0:3], v62 offset0:30 offset1:36
	v_add_co_u32_e32 v4, vcc, s8, v4
	s_waitcnt vmcnt(0) lgkmcnt(0)
	v_mul_f32_e32 v8, v1, v7
	v_mul_f32_e32 v7, v0, v7
	v_fmac_f32_e32 v8, v0, v6
	v_fma_f32 v6, v6, v1, -v7
	v_cvt_f64_f32_e32 v[0:1], v8
	v_cvt_f64_f32_e32 v[6:7], v6
	v_mov_b32_e32 v8, s9
	v_addc_co_u32_e32 v5, vcc, v5, v8, vcc
	v_mul_f64 v[0:1], v[0:1], s[4:5]
	v_mul_f64 v[6:7], v[6:7], s[4:5]
	v_cvt_f32_f64_e32 v0, v[0:1]
	v_cvt_f32_f64_e32 v1, v[6:7]
	global_store_dwordx2 v[4:5], v[0:1], off
	global_load_dwordx2 v[0:1], v58, s[6:7] offset:288
	v_add_co_u32_e32 v4, vcc, s2, v4
	s_waitcnt vmcnt(0)
	v_mul_f32_e32 v6, v3, v1
	v_mul_f32_e32 v1, v2, v1
	v_fmac_f32_e32 v6, v2, v0
	v_fma_f32 v2, v0, v3, -v1
	v_cvt_f64_f32_e32 v[0:1], v6
	v_cvt_f64_f32_e32 v[2:3], v2
	v_mov_b32_e32 v6, s3
	v_addc_co_u32_e32 v5, vcc, v5, v6, vcc
	v_mul_f64 v[0:1], v[0:1], s[4:5]
	v_mul_f64 v[2:3], v[2:3], s[4:5]
	v_cvt_f32_f64_e32 v0, v[0:1]
	v_cvt_f32_f64_e32 v1, v[2:3]
	global_store_dwordx2 v[4:5], v[0:1], off
	global_load_dwordx2 v[6:7], v58, s[6:7] offset:336
	ds_read2_b64 v[0:3], v62 offset0:42 offset1:48
	v_add_co_u32_e32 v4, vcc, s2, v4
	s_waitcnt vmcnt(0) lgkmcnt(0)
	v_mul_f32_e32 v8, v1, v7
	v_mul_f32_e32 v7, v0, v7
	v_fmac_f32_e32 v8, v0, v6
	v_fma_f32 v6, v6, v1, -v7
	v_cvt_f64_f32_e32 v[0:1], v8
	v_cvt_f64_f32_e32 v[6:7], v6
	v_mov_b32_e32 v8, s3
	v_addc_co_u32_e32 v5, vcc, v5, v8, vcc
	v_mul_f64 v[0:1], v[0:1], s[4:5]
	v_mul_f64 v[6:7], v[6:7], s[4:5]
	v_cvt_f32_f64_e32 v0, v[0:1]
	v_cvt_f32_f64_e32 v1, v[6:7]
	v_mad_u64_u32 v[6:7], s[10:11], s0, v59, 0
	global_store_dwordx2 v[4:5], v[0:1], off
	global_load_dwordx2 v[0:1], v58, s[6:7] offset:384
	s_waitcnt vmcnt(0)
	v_mul_f32_e32 v8, v3, v1
	v_mul_f32_e32 v1, v2, v1
	v_fmac_f32_e32 v8, v2, v0
	v_fma_f32 v2, v0, v3, -v1
	v_cvt_f64_f32_e32 v[0:1], v8
	v_cvt_f64_f32_e32 v[2:3], v2
	v_mad_u64_u32 v[7:8], s[10:11], s1, v59, v[7:8]
	v_mul_f64 v[0:1], v[0:1], s[4:5]
	v_mul_f64 v[2:3], v[2:3], s[4:5]
	v_lshlrev_b64 v[6:7], 3, v[6:7]
	v_cvt_f32_f64_e32 v0, v[0:1]
	v_cvt_f32_f64_e32 v1, v[2:3]
	v_add_co_u32_e32 v2, vcc, v9, v6
	v_addc_co_u32_e32 v3, vcc, v10, v7, vcc
	global_store_dwordx2 v[2:3], v[0:1], off
	global_load_dwordx2 v[6:7], v58, s[6:7] offset:432
	ds_read2_b64 v[0:3], v62 offset0:54 offset1:60
	v_add_co_u32_e32 v4, vcc, s8, v4
	s_waitcnt vmcnt(0) lgkmcnt(0)
	v_mul_f32_e32 v8, v1, v7
	v_mul_f32_e32 v7, v0, v7
	v_fmac_f32_e32 v8, v0, v6
	v_fma_f32 v6, v6, v1, -v7
	v_cvt_f64_f32_e32 v[0:1], v8
	v_cvt_f64_f32_e32 v[6:7], v6
	v_mov_b32_e32 v8, s9
	v_addc_co_u32_e32 v5, vcc, v5, v8, vcc
	v_mul_f64 v[0:1], v[0:1], s[4:5]
	v_mul_f64 v[6:7], v[6:7], s[4:5]
	v_cvt_f32_f64_e32 v0, v[0:1]
	v_cvt_f32_f64_e32 v1, v[6:7]
	global_store_dwordx2 v[4:5], v[0:1], off
	global_load_dwordx2 v[0:1], v58, s[6:7] offset:480
	v_add_co_u32_e32 v4, vcc, s2, v4
	s_waitcnt vmcnt(0)
	v_mul_f32_e32 v6, v3, v1
	v_mul_f32_e32 v1, v2, v1
	v_fmac_f32_e32 v6, v2, v0
	v_fma_f32 v2, v0, v3, -v1
	v_cvt_f64_f32_e32 v[0:1], v6
	v_cvt_f64_f32_e32 v[2:3], v2
	v_mov_b32_e32 v6, s3
	v_addc_co_u32_e32 v5, vcc, v5, v6, vcc
	v_mul_f64 v[0:1], v[0:1], s[4:5]
	v_mul_f64 v[2:3], v[2:3], s[4:5]
	v_cvt_f32_f64_e32 v0, v[0:1]
	v_cvt_f32_f64_e32 v1, v[2:3]
	global_store_dwordx2 v[4:5], v[0:1], off
	global_load_dwordx2 v[6:7], v58, s[6:7] offset:528
	ds_read2_b64 v[0:3], v62 offset0:66 offset1:72
	v_add_co_u32_e32 v4, vcc, s2, v4
	s_waitcnt vmcnt(0) lgkmcnt(0)
	v_mul_f32_e32 v8, v1, v7
	v_mul_f32_e32 v7, v0, v7
	v_fmac_f32_e32 v8, v0, v6
	v_fma_f32 v6, v6, v1, -v7
	v_cvt_f64_f32_e32 v[0:1], v8
	v_cvt_f64_f32_e32 v[6:7], v6
	v_mov_b32_e32 v8, s3
	v_addc_co_u32_e32 v5, vcc, v5, v8, vcc
	v_mul_f64 v[0:1], v[0:1], s[4:5]
	v_mul_f64 v[6:7], v[6:7], s[4:5]
	v_or_b32_e32 v8, 0x48, v57
	v_cvt_f32_f64_e32 v0, v[0:1]
	v_cvt_f32_f64_e32 v1, v[6:7]
	v_mad_u64_u32 v[6:7], s[10:11], s0, v8, 0
	global_store_dwordx2 v[4:5], v[0:1], off
	global_load_dwordx2 v[0:1], v58, s[6:7] offset:576
	v_mad_u64_u32 v[7:8], s[10:11], s1, v8, v[7:8]
	v_lshlrev_b64 v[6:7], 3, v[6:7]
	s_waitcnt vmcnt(0)
	v_mul_f32_e32 v11, v3, v1
	v_mul_f32_e32 v1, v2, v1
	v_fmac_f32_e32 v11, v2, v0
	v_fma_f32 v2, v0, v3, -v1
	v_cvt_f64_f32_e32 v[0:1], v11
	v_cvt_f64_f32_e32 v[2:3], v2
	v_mul_f64 v[0:1], v[0:1], s[4:5]
	v_mul_f64 v[2:3], v[2:3], s[4:5]
	v_cvt_f32_f64_e32 v0, v[0:1]
	v_cvt_f32_f64_e32 v1, v[2:3]
	v_add_co_u32_e32 v2, vcc, v9, v6
	v_addc_co_u32_e32 v3, vcc, v10, v7, vcc
	global_store_dwordx2 v[2:3], v[0:1], off
	global_load_dwordx2 v[6:7], v58, s[6:7] offset:624
	ds_read2_b64 v[0:3], v62 offset0:78 offset1:84
	v_add_co_u32_e32 v4, vcc, s8, v4
	s_waitcnt vmcnt(0) lgkmcnt(0)
	v_mul_f32_e32 v8, v1, v7
	v_mul_f32_e32 v7, v0, v7
	v_fmac_f32_e32 v8, v0, v6
	v_fma_f32 v6, v6, v1, -v7
	v_cvt_f64_f32_e32 v[0:1], v8
	v_cvt_f64_f32_e32 v[6:7], v6
	v_mov_b32_e32 v8, s9
	v_addc_co_u32_e32 v5, vcc, v5, v8, vcc
	v_mul_f64 v[0:1], v[0:1], s[4:5]
	v_mul_f64 v[6:7], v[6:7], s[4:5]
	v_cvt_f32_f64_e32 v0, v[0:1]
	v_cvt_f32_f64_e32 v1, v[6:7]
	global_store_dwordx2 v[4:5], v[0:1], off
	global_load_dwordx2 v[0:1], v58, s[6:7] offset:672
	v_add_co_u32_e32 v4, vcc, s2, v4
	s_waitcnt vmcnt(0)
	v_mul_f32_e32 v6, v3, v1
	v_mul_f32_e32 v1, v2, v1
	v_fmac_f32_e32 v6, v2, v0
	v_fma_f32 v2, v0, v3, -v1
	v_cvt_f64_f32_e32 v[0:1], v6
	v_cvt_f64_f32_e32 v[2:3], v2
	v_mov_b32_e32 v6, s3
	v_addc_co_u32_e32 v5, vcc, v5, v6, vcc
	v_mul_f64 v[0:1], v[0:1], s[4:5]
	v_mul_f64 v[2:3], v[2:3], s[4:5]
	v_cvt_f32_f64_e32 v0, v[0:1]
	v_cvt_f32_f64_e32 v1, v[2:3]
	global_store_dwordx2 v[4:5], v[0:1], off
	global_load_dwordx2 v[6:7], v58, s[6:7] offset:720
	ds_read2_b64 v[0:3], v62 offset0:90 offset1:96
	v_add_co_u32_e32 v4, vcc, s2, v4
	s_waitcnt vmcnt(0) lgkmcnt(0)
	v_mul_f32_e32 v8, v1, v7
	v_mul_f32_e32 v7, v0, v7
	v_fmac_f32_e32 v8, v0, v6
	v_fma_f32 v6, v6, v1, -v7
	v_cvt_f64_f32_e32 v[0:1], v8
	v_cvt_f64_f32_e32 v[6:7], v6
	v_mov_b32_e32 v8, s3
	v_addc_co_u32_e32 v5, vcc, v5, v8, vcc
	v_mul_f64 v[0:1], v[0:1], s[4:5]
	v_mul_f64 v[6:7], v[6:7], s[4:5]
	v_cvt_f32_f64_e32 v0, v[0:1]
	v_cvt_f32_f64_e32 v1, v[6:7]
	v_or_b32_e32 v6, 0x60, v57
	global_store_dwordx2 v[4:5], v[0:1], off
	global_load_dwordx2 v[0:1], v58, s[6:7] offset:768
	v_mad_u64_u32 v[4:5], s[2:3], s0, v6, 0
	v_mad_u64_u32 v[5:6], s[0:1], s1, v6, v[5:6]
	v_lshlrev_b64 v[4:5], 3, v[4:5]
	s_waitcnt vmcnt(0)
	v_mul_f32_e32 v7, v3, v1
	v_mul_f32_e32 v1, v2, v1
	v_fmac_f32_e32 v7, v2, v0
	v_fma_f32 v2, v0, v3, -v1
	v_cvt_f64_f32_e32 v[0:1], v7
	v_cvt_f64_f32_e32 v[2:3], v2
	v_mul_f64 v[0:1], v[0:1], s[4:5]
	v_mul_f64 v[2:3], v[2:3], s[4:5]
	v_cvt_f32_f64_e32 v0, v[0:1]
	v_cvt_f32_f64_e32 v1, v[2:3]
	v_add_co_u32_e32 v2, vcc, v9, v4
	v_addc_co_u32_e32 v3, vcc, v10, v5, vcc
	global_store_dwordx2 v[2:3], v[0:1], off
.LBB0_15:
	s_endpgm
	.section	.rodata,"a",@progbits
	.p2align	6, 0x0
	.amdhsa_kernel bluestein_single_fwd_len102_dim1_sp_op_CI_CI
		.amdhsa_group_segment_fixed_size 5712
		.amdhsa_private_segment_fixed_size 0
		.amdhsa_kernarg_size 104
		.amdhsa_user_sgpr_count 6
		.amdhsa_user_sgpr_private_segment_buffer 1
		.amdhsa_user_sgpr_dispatch_ptr 0
		.amdhsa_user_sgpr_queue_ptr 0
		.amdhsa_user_sgpr_kernarg_segment_ptr 1
		.amdhsa_user_sgpr_dispatch_id 0
		.amdhsa_user_sgpr_flat_scratch_init 0
		.amdhsa_user_sgpr_private_segment_size 0
		.amdhsa_uses_dynamic_stack 0
		.amdhsa_system_sgpr_private_segment_wavefront_offset 0
		.amdhsa_system_sgpr_workgroup_id_x 1
		.amdhsa_system_sgpr_workgroup_id_y 0
		.amdhsa_system_sgpr_workgroup_id_z 0
		.amdhsa_system_sgpr_workgroup_info 0
		.amdhsa_system_vgpr_workitem_id 0
		.amdhsa_next_free_vgpr 224
		.amdhsa_next_free_sgpr 18
		.amdhsa_reserve_vcc 1
		.amdhsa_reserve_flat_scratch 0
		.amdhsa_float_round_mode_32 0
		.amdhsa_float_round_mode_16_64 0
		.amdhsa_float_denorm_mode_32 3
		.amdhsa_float_denorm_mode_16_64 3
		.amdhsa_dx10_clamp 1
		.amdhsa_ieee_mode 1
		.amdhsa_fp16_overflow 0
		.amdhsa_exception_fp_ieee_invalid_op 0
		.amdhsa_exception_fp_denorm_src 0
		.amdhsa_exception_fp_ieee_div_zero 0
		.amdhsa_exception_fp_ieee_overflow 0
		.amdhsa_exception_fp_ieee_underflow 0
		.amdhsa_exception_fp_ieee_inexact 0
		.amdhsa_exception_int_div_zero 0
	.end_amdhsa_kernel
	.text
.Lfunc_end0:
	.size	bluestein_single_fwd_len102_dim1_sp_op_CI_CI, .Lfunc_end0-bluestein_single_fwd_len102_dim1_sp_op_CI_CI
                                        ; -- End function
	.section	.AMDGPU.csdata,"",@progbits
; Kernel info:
; codeLenInByte = 15212
; NumSgprs: 22
; NumVgprs: 224
; ScratchSize: 0
; MemoryBound: 0
; FloatMode: 240
; IeeeMode: 1
; LDSByteSize: 5712 bytes/workgroup (compile time only)
; SGPRBlocks: 2
; VGPRBlocks: 55
; NumSGPRsForWavesPerEU: 22
; NumVGPRsForWavesPerEU: 224
; Occupancy: 1
; WaveLimiterHint : 1
; COMPUTE_PGM_RSRC2:SCRATCH_EN: 0
; COMPUTE_PGM_RSRC2:USER_SGPR: 6
; COMPUTE_PGM_RSRC2:TRAP_HANDLER: 0
; COMPUTE_PGM_RSRC2:TGID_X_EN: 1
; COMPUTE_PGM_RSRC2:TGID_Y_EN: 0
; COMPUTE_PGM_RSRC2:TGID_Z_EN: 0
; COMPUTE_PGM_RSRC2:TIDIG_COMP_CNT: 0
	.type	__hip_cuid_3f78a680ff38f2a6,@object ; @__hip_cuid_3f78a680ff38f2a6
	.section	.bss,"aw",@nobits
	.globl	__hip_cuid_3f78a680ff38f2a6
__hip_cuid_3f78a680ff38f2a6:
	.byte	0                               ; 0x0
	.size	__hip_cuid_3f78a680ff38f2a6, 1

	.ident	"AMD clang version 19.0.0git (https://github.com/RadeonOpenCompute/llvm-project roc-6.4.0 25133 c7fe45cf4b819c5991fe208aaa96edf142730f1d)"
	.section	".note.GNU-stack","",@progbits
	.addrsig
	.addrsig_sym __hip_cuid_3f78a680ff38f2a6
	.amdgpu_metadata
---
amdhsa.kernels:
  - .args:
      - .actual_access:  read_only
        .address_space:  global
        .offset:         0
        .size:           8
        .value_kind:     global_buffer
      - .actual_access:  read_only
        .address_space:  global
        .offset:         8
        .size:           8
        .value_kind:     global_buffer
      - .actual_access:  read_only
        .address_space:  global
        .offset:         16
        .size:           8
        .value_kind:     global_buffer
      - .actual_access:  read_only
        .address_space:  global
        .offset:         24
        .size:           8
        .value_kind:     global_buffer
      - .actual_access:  read_only
        .address_space:  global
        .offset:         32
        .size:           8
        .value_kind:     global_buffer
      - .offset:         40
        .size:           8
        .value_kind:     by_value
      - .address_space:  global
        .offset:         48
        .size:           8
        .value_kind:     global_buffer
      - .address_space:  global
        .offset:         56
        .size:           8
        .value_kind:     global_buffer
      - .address_space:  global
        .offset:         64
        .size:           8
        .value_kind:     global_buffer
      - .address_space:  global
        .offset:         72
        .size:           8
        .value_kind:     global_buffer
      - .offset:         80
        .size:           4
        .value_kind:     by_value
      - .address_space:  global
        .offset:         88
        .size:           8
        .value_kind:     global_buffer
      - .address_space:  global
        .offset:         96
        .size:           8
        .value_kind:     global_buffer
    .group_segment_fixed_size: 5712
    .kernarg_segment_align: 8
    .kernarg_segment_size: 104
    .language:       OpenCL C
    .language_version:
      - 2
      - 0
    .max_flat_workgroup_size: 119
    .name:           bluestein_single_fwd_len102_dim1_sp_op_CI_CI
    .private_segment_fixed_size: 0
    .sgpr_count:     22
    .sgpr_spill_count: 0
    .symbol:         bluestein_single_fwd_len102_dim1_sp_op_CI_CI.kd
    .uniform_work_group_size: 1
    .uses_dynamic_stack: false
    .vgpr_count:     224
    .vgpr_spill_count: 0
    .wavefront_size: 64
amdhsa.target:   amdgcn-amd-amdhsa--gfx906
amdhsa.version:
  - 1
  - 2
...

	.end_amdgpu_metadata
